;; amdgpu-corpus repo=ROCm/rccl kind=compiled arch=gfx1100 opt=O3
	.text
	.amdgcn_target "amdgcn-amd-amdhsa--gfx1100"
	.amdhsa_code_object_version 6
	.p2align	2                               ; -- Begin function _ZN12_GLOBAL__N_17runRingI6__half8FuncProdIS1_E7ProtoLLLi0ELi1ELi0EEEviiP15ncclDevWorkColl
	.type	_ZN12_GLOBAL__N_17runRingI6__half8FuncProdIS1_E7ProtoLLLi0ELi1ELi0EEEviiP15ncclDevWorkColl,@function
_ZN12_GLOBAL__N_17runRingI6__half8FuncProdIS1_E7ProtoLLLi0ELi1ELi0EEEviiP15ncclDevWorkColl: ; @_ZN12_GLOBAL__N_17runRingI6__half8FuncProdIS1_E7ProtoLLLi0ELi1ELi0EEEviiP15ncclDevWorkColl
; %bb.0:
	s_waitcnt vmcnt(0) expcnt(0) lgkmcnt(0)
	s_cbranch_execnz .LBB0_15
; %bb.1:
	v_mov_b32_e32 v4, v0
	s_clause 0x2
	flat_load_b32 v0, v[2:3]
	flat_load_b128 v[6:9], v[2:3] offset:72
	flat_load_b64 v[20:21], v[2:3] offset:88
	s_mov_b32 s0, exec_lo
                                        ; implicit-def: $vgpr18_vgpr19
                                        ; implicit-def: $vgpr24_vgpr25
	s_waitcnt vmcnt(2) lgkmcnt(2)
	v_and_b32_e32 v12, 0xff, v0
	v_bfe_u32 v11, v0, 8, 8
	ds_load_b32 v10, v0
	v_not_b32_e32 v5, v12
	s_delay_alu instid0(VALU_DEP_1)
	v_add_nc_u32_e32 v0, v11, v5
	ds_load_b64 v[22:23], v0
	v_ashrrev_i32_e32 v13, 31, v0
	s_waitcnt vmcnt(1) lgkmcnt(3)
	v_mul_lo_u32 v14, v9, v0
	v_mad_u64_u32 v[54:55], null, v8, v0, 0
	s_delay_alu instid0(VALU_DEP_3) | instskip(SKIP_2) | instid1(VALU_DEP_2)
	v_mul_lo_u32 v0, v8, v13
	s_waitcnt lgkmcnt(1)
	v_readfirstlane_b32 s14, v10
	v_add3_u32 v0, v55, v0, v14
	v_cmpx_ne_u32_e64 v12, v10
	s_xor_b32 s0, exec_lo, s0
	s_cbranch_execz .LBB0_7
; %bb.2:
	s_mov_b32 s1, exec_lo
                                        ; implicit-def: $vgpr18_vgpr19
                                        ; implicit-def: $vgpr24_vgpr25
	v_cmpx_ne_u32_e64 v11, v10
	s_xor_b32 s1, exec_lo, s1
	s_cbranch_execz .LBB0_4
; %bb.3:
	flat_load_b64 v[11:12], v[2:3] offset:96
	v_add_nc_u32_e32 v5, v10, v5
	s_delay_alu instid0(VALU_DEP_1) | instskip(SKIP_2) | instid1(VALU_DEP_3)
	v_ashrrev_i32_e32 v10, 31, v5
	v_mul_lo_u32 v13, v9, v5
	v_mad_u64_u32 v[24:25], null, v8, v5, v[6:7]
	v_mul_lo_u32 v10, v8, v10
	s_delay_alu instid0(VALU_DEP_1)
	v_add3_u32 v25, v13, v25, v10
	s_waitcnt vmcnt(0) lgkmcnt(0)
	v_lshrrev_b64 v[18:19], 18, v[11:12]
.LBB0_4:
	s_and_not1_saveexec_b32 s1, s1
	s_cbranch_execz .LBB0_6
; %bb.5:
	flat_load_b32 v5, v[2:3] offset:100
	v_add_co_u32 v24, vcc_lo, v54, v6
	v_add_co_ci_u32_e32 v25, vcc_lo, v0, v7, vcc_lo
	s_waitcnt vmcnt(1)
	v_dual_mov_b32 v8, v20 :: v_dual_mov_b32 v9, v21
	s_waitcnt vmcnt(0) lgkmcnt(0)
	v_lshrrev_b32_e32 v18, 7, v5
.LBB0_6:
	s_or_b32 exec_lo, exec_lo, s1
.LBB0_7:
	s_and_not1_saveexec_b32 s0, s0
	s_cbranch_execz .LBB0_9
; %bb.8:
	flat_load_b64 v[8:9], v[2:3] offset:96
	v_mov_b32_e32 v24, 0
	v_mov_b32_e32 v25, 0
	s_waitcnt vmcnt(0) lgkmcnt(0)
	v_lshlrev_b64 v[18:19], 3, v[8:9]
	v_dual_mov_b32 v9, v7 :: v_dual_mov_b32 v8, v6
.LBB0_9:
	s_or_b32 exec_lo, exec_lo, s0
	s_load_b32 s0, s[8:9], 0x0
	v_mov_b32_e32 v5, 0
	s_mov_b32 s2, 0
	s_waitcnt lgkmcnt(0)
	s_cmp_lt_u32 s12, s0
	s_cselect_b32 s0, 12, 18
	s_delay_alu instid0(SALU_CYCLE_1)
	s_add_u32 s0, s8, s0
	s_addc_u32 s1, s9, 0
	s_clause 0x2
	flat_load_b128 v[10:13], v[2:3] offset:16
	flat_load_u16 v15, v[2:3] offset:8
	flat_load_b32 v14, v[2:3] offset:4
	global_load_u16 v19, v5, s[0:1]
	s_cbranch_execnz .LBB0_17
; %bb.10:
	ds_load_b32 v2, v0
	v_ashrrev_i32_e32 v5, 31, v4
	s_waitcnt vmcnt(1) lgkmcnt(1)
	v_lshrrev_b64 v[14:15], 31, v[14:15]
	s_delay_alu instid0(VALU_DEP_2) | instskip(NEXT) | instid1(VALU_DEP_2)
	v_lshrrev_b32_e32 v3, 27, v5
	v_and_b32_e32 v15, 3, v14
	s_delay_alu instid0(VALU_DEP_2) | instskip(NEXT) | instid1(VALU_DEP_1)
	v_add_nc_u32_e32 v3, v4, v3
	v_and_b32_e32 v3, 0xffffffe0, v3
	s_waitcnt lgkmcnt(0)
	v_cmp_gt_i32_e32 vcc_lo, 0, v2
	s_delay_alu instid0(VALU_DEP_2)
	v_sub_nc_u32_e32 v14, v4, v3
	v_readfirstlane_b32 s1, v2
	s_cbranch_vccnz .LBB0_19
; %bb.11:
	s_delay_alu instid0(VALU_DEP_2)
	v_cmp_eq_u32_e32 vcc_lo, 0, v14
	s_cbranch_execnz .LBB0_23
; %bb.12:
	ds_load_b64 v[16:17], v0
	v_dual_mov_b32 v3, 0 :: v_dual_and_b32 v26, 0xffff, v15
	s_mov_b32 s2, 1
	s_delay_alu instid0(VALU_DEP_1) | instskip(SKIP_1) | instid1(VALU_DEP_1)
	v_lshlrev_b64 v[2:3], 3, v[2:3]
	s_waitcnt lgkmcnt(0)
	v_add_co_u32 v2, s0, v16, v2
	s_delay_alu instid0(VALU_DEP_1)
	v_add_co_ci_u32_e64 v3, s0, v17, v3, s0
	flat_load_b64 v[2:3], v[2:3]
	s_waitcnt vmcnt(0) lgkmcnt(0)
	v_mad_u64_u32 v[16:17], null, 0xa8, v26, v[2:3]
	s_clause 0x1
	flat_load_b64 v[28:29], v[16:17] offset:504
	flat_load_b64 v[32:33], v[16:17] offset:608
	v_add_co_u32 v2, s0, 0x1f8, v16
	s_delay_alu instid0(VALU_DEP_1) | instskip(NEXT) | instid1(VALU_DEP_1)
	v_add_co_ci_u32_e64 v3, s0, 0, v17, s0
	v_dual_cndmask_b32 v26, 0, v2 :: v_dual_cndmask_b32 v27, 0, v3
	s_cbranch_execz .LBB0_20
.LBB0_13:
	s_trap 2
	s_sendmsg_rtn_b32 s0, sendmsg(MSG_RTN_GET_DOORBELL)
	s_mov_b32 ttmp2, m0
	s_waitcnt lgkmcnt(0)
	s_and_b32 s0, s0, 0x3ff
	s_delay_alu instid0(SALU_CYCLE_1) | instskip(NEXT) | instid1(SALU_CYCLE_1)
	s_bitset1_b32 s0, 10
	s_mov_b32 m0, s0
	s_sendmsg sendmsg(MSG_INTERRUPT)
	s_mov_b32 m0, ttmp2
.LBB0_14:                               ; =>This Inner Loop Header: Depth=1
	s_sethalt 5
	s_branch .LBB0_14
.LBB0_15:
	s_trap 2
	s_sendmsg_rtn_b32 s0, sendmsg(MSG_RTN_GET_DOORBELL)
	s_mov_b32 ttmp2, m0
	s_waitcnt lgkmcnt(0)
	s_and_b32 s0, s0, 0x3ff
	s_delay_alu instid0(SALU_CYCLE_1) | instskip(NEXT) | instid1(SALU_CYCLE_1)
	s_bitset1_b32 s0, 10
	s_mov_b32 m0, s0
	s_sendmsg sendmsg(MSG_INTERRUPT)
	s_mov_b32 m0, ttmp2
.LBB0_16:                               ; =>This Inner Loop Header: Depth=1
	s_sethalt 5
	s_branch .LBB0_16
.LBB0_17:
	s_trap 2
	s_sendmsg_rtn_b32 s0, sendmsg(MSG_RTN_GET_DOORBELL)
	s_mov_b32 ttmp2, m0
	s_waitcnt lgkmcnt(0)
	s_and_b32 s0, s0, 0x3ff
	s_delay_alu instid0(SALU_CYCLE_1) | instskip(NEXT) | instid1(SALU_CYCLE_1)
	s_bitset1_b32 s0, 10
	s_mov_b32 m0, s0
	s_sendmsg sendmsg(MSG_INTERRUPT)
	s_mov_b32 m0, ttmp2
.LBB0_18:                               ; =>This Inner Loop Header: Depth=1
	s_sethalt 5
	s_branch .LBB0_18
.LBB0_19:
	v_mov_b32_e32 v26, 0
	v_mov_b32_e32 v27, 0
                                        ; implicit-def: $vgpr32_vgpr33
                                        ; implicit-def: $vgpr28_vgpr29
	s_cbranch_execnz .LBB0_13
.LBB0_20:
	ds_load_b32 v2, v0
	v_mov_b32_e32 v36, 0
	v_mov_b32_e32 v37, 0
	s_waitcnt lgkmcnt(0)
	v_cmp_gt_i32_e32 vcc_lo, 0, v2
	s_cbranch_vccnz .LBB0_25
; %bb.21:
	s_cbranch_execnz .LBB0_249
; %bb.22:
	ds_load_b64 v[16:17], v0
	v_mov_b32_e32 v3, 0
	s_delay_alu instid0(VALU_DEP_1) | instskip(SKIP_1) | instid1(VALU_DEP_1)
	v_lshlrev_b64 v[2:3], 3, v[2:3]
	s_waitcnt lgkmcnt(0)
	v_add_co_u32 v2, vcc_lo, v16, v2
	s_delay_alu instid0(VALU_DEP_2)
	v_add_co_ci_u32_e32 v3, vcc_lo, v17, v3, vcc_lo
	v_and_b32_e32 v17, 0xffff, v15
	v_cmp_eq_u32_e32 vcc_lo, 0, v14
	flat_load_b64 v[2:3], v[2:3]
	s_waitcnt vmcnt(0) lgkmcnt(0)
	v_mad_u64_u32 v[15:16], null, 0xa8, v17, v[2:3]
	s_clause 0x1
	flat_load_b64 v[38:39], v[15:16]
	flat_load_b64 v[98:99], v[15:16] offset:104
	v_dual_cndmask_b32 v34, 0, v15 :: v_dual_cndmask_b32 v35, 0, v16
	s_branch .LBB0_26
.LBB0_23:
	s_trap 2
	s_sendmsg_rtn_b32 s0, sendmsg(MSG_RTN_GET_DOORBELL)
	s_mov_b32 ttmp2, m0
	s_waitcnt lgkmcnt(0)
	s_and_b32 s0, s0, 0x3ff
	s_delay_alu instid0(SALU_CYCLE_1) | instskip(NEXT) | instid1(SALU_CYCLE_1)
	s_bitset1_b32 s0, 10
	s_mov_b32 m0, s0
	s_sendmsg sendmsg(MSG_INTERRUPT)
	s_mov_b32 m0, ttmp2
.LBB0_24:                               ; =>This Inner Loop Header: Depth=1
	s_sethalt 5
	s_branch .LBB0_24
.LBB0_25:
	s_delay_alu instid0(VALU_DEP_2)
	v_dual_mov_b32 v34, v36 :: v_dual_mov_b32 v35, v37
                                        ; implicit-def: $vgpr98_vgpr99
                                        ; implicit-def: $vgpr38_vgpr39
.LBB0_26:
	v_subrev_nc_u32_e32 v2, 32, v1
	v_cmp_gt_i32_e64 s0, s2, v14
                                        ; implicit-def: $vgpr48_vgpr49
	s_delay_alu instid0(VALU_DEP_2) | instskip(NEXT) | instid1(VALU_DEP_2)
	v_cmp_le_i32_e32 vcc_lo, v2, v4
	s_and_b32 s11, vcc_lo, s0
	s_delay_alu instid0(SALU_CYCLE_1)
	s_and_saveexec_b32 s0, s11
; %bb.27:
	s_clause 0x1
	flat_load_b64 v[36:37], v[26:27] offset:56
	flat_load_b64 v[48:49], v[26:27] offset:104
; %bb.28:
	s_or_b32 exec_lo, exec_lo, s0
	v_mov_b32_e32 v2, 0
	v_mov_b32_e32 v3, 0
	v_cmp_gt_i32_e64 s0, s2, v4
                                        ; implicit-def: $vgpr52_vgpr53
	s_delay_alu instid0(VALU_DEP_2) | instskip(SKIP_1) | instid1(VALU_DEP_3)
	v_dual_mov_b32 v15, v3 :: v_dual_mov_b32 v14, v2
	v_dual_mov_b32 v51, v3 :: v_dual_mov_b32 v50, v2
	s_and_saveexec_b32 s2, s0
	s_cbranch_execz .LBB0_30
; %bb.29:
	flat_load_b64 v[50:51], v[34:35] offset:56
	s_waitcnt vmcnt(0) lgkmcnt(0)
	flat_load_b64 v[52:53], v[50:51] glc dlc
	s_waitcnt vmcnt(0)
	flat_load_b128 v[14:17], v[34:35] offset:96
.LBB0_30:
	s_or_b32 exec_lo, exec_lo, s2
	s_waitcnt vmcnt(0)
	v_and_b32_e32 v30, 0xffff, v19
	s_mov_b32 s12, exec_lo
	v_cmpx_ne_u64_e32 0, v[8:9]
	s_cbranch_execz .LBB0_237
; %bb.31:
	v_dual_mov_b32 v55, 0 :: v_dual_and_b32 v64, 0xfffff8, v18
	v_add_co_u32 v2, vcc_lo, v20, v6
	s_ashr_i32 s2, s1, 31
	s_delay_alu instid0(VALU_DEP_2)
	v_dual_mov_b32 v65, v55 :: v_dual_lshlrev_b32 v68, 2, v4
	v_add_co_ci_u32_e32 v3, vcc_lo, v21, v7, vcc_lo
	s_lshr_b32 s2, s2, 29
	s_ashr_i32 s15, s14, 31
	v_add_co_u32 v6, vcc_lo, v2, v54
	v_ashrrev_i32_e32 v69, 31, v68
	s_add_i32 s1, s1, s2
	s_lshl_b64 s[2:3], s[14:15], 2
	v_ashrrev_i32_e32 v2, 31, v1
	v_add_co_ci_u32_e32 v7, vcc_lo, v3, v0, vcc_lo
	v_add_co_u32 v0, vcc_lo, v22, s2
	v_add_co_ci_u32_e32 v3, vcc_lo, s3, v23, vcc_lo
	v_lshlrev_b64 v[80:81], 1, v[68:69]
	v_lshrrev_b32_e32 v19, 27, v2
	s_delay_alu instid0(VALU_DEP_4) | instskip(NEXT) | instid1(VALU_DEP_4)
	v_add_co_u32 v66, vcc_lo, v0, -4
	v_add_co_ci_u32_e32 v67, vcc_lo, -1, v3, vcc_lo
	v_dual_mov_b32 v86, 0 :: v_dual_and_b32 v3, 31, v31
	s_delay_alu instid0(VALU_DEP_4)
	v_dual_mov_b32 v87, 0 :: v_dual_add_nc_u32 v0, v1, v19
	v_add_co_u32 v119, vcc_lo, v12, v80
	v_lshlrev_b64 v[19:20], 1, v[24:25]
	v_add_co_ci_u32_e32 v128, vcc_lo, v13, v81, vcc_lo
	v_add_co_u32 v129, vcc_lo, v10, v80
	v_cmp_eq_u32_e64 s5, 0, v3
	v_dual_mov_b32 v144, 0 :: v_dual_lshlrev_b32 v3, 1, v24
	v_dual_mov_b32 v135, 1 :: v_dual_lshlrev_b32 v70, 2, v1
	v_add_co_ci_u32_e32 v130, vcc_lo, v11, v81, vcc_lo
	v_and_b32_e32 v54, 1, v10
	v_add_co_u32 v10, vcc_lo, v119, v19
	v_ashrrev_i32_e32 v118, 5, v0
	v_lshlrev_b32_e32 v0, 1, v18
	v_add_co_ci_u32_e32 v11, vcc_lo, v128, v20, vcc_lo
	v_lshlrev_b32_e32 v20, 4, v18
	v_lshlrev_b64 v[18:19], 4, v[4:5]
	v_lshl_add_u32 v3, v4, 3, v3
	v_ashrrev_i32_e32 v71, 31, v70
	s_ashr_i32 s4, s1, 3
	v_and_b32_e32 v131, 0x1fffff0, v0
	v_lshlrev_b64 v[96:97], 4, v[1:2]
	v_add_lshl_u32 v0, v3, v12, 3
	v_mov_b32_e32 v2, v86
	s_waitcnt lgkmcnt(1)
	v_add_co_u32 v133, vcc_lo, v38, v18
	s_ashr_i32 s13, s1, 7
	v_cmp_ne_u64_e64 s1, 0, v[50:51]
	s_waitcnt lgkmcnt(0)
	v_cmp_ne_u64_e64 s2, 0, v[14:15]
	v_cmp_ne_u64_e64 s6, 0, v[36:37]
	v_lshlrev_b64 v[82:83], 1, v[6:7]
	v_lshlrev_b64 v[84:85], 1, v[70:71]
	v_mov_b32_e32 v3, v87
	v_cmp_eq_u64_e64 s7, 0, v[54:55]
	s_and_b32 s15, s4, -16
	v_cmp_ne_u32_e64 s3, 32, v1
	v_cmp_ne_u32_e64 s4, v30, v1
	v_ashrrev_i32_e32 v69, 31, v118
	v_and_b32_e32 v5, 0xfffff80, v20
	v_lshlrev_b32_e32 v71, 4, v6
	v_lshlrev_b32_e32 v132, 6, v1
	v_add_co_ci_u32_e32 v134, vcc_lo, v39, v19, vcc_lo
	s_cmp_gt_i32 s14, 2
	s_mov_b32 s16, 0
	s_cselect_b32 s17, -1, 0
.LBB0_32:                               ; =>This Loop Header: Depth=1
                                        ;     Child Loop BB0_39 Depth 2
                                        ;     Child Loop BB0_59 Depth 2
                                        ;     Child Loop BB0_75 Depth 2
                                        ;     Child Loop BB0_82 Depth 2
                                        ;     Child Loop BB0_85 Depth 2
                                        ;       Child Loop BB0_92 Depth 3
                                        ;       Child Loop BB0_112 Depth 3
	;; [unrolled: 1-line block ×3, first 2 shown]
                                        ;         Child Loop BB0_138 Depth 4
                                        ;       Child Loop BB0_160 Depth 3
                                        ;       Child Loop BB0_177 Depth 3
                                        ;     Child Loop BB0_182 Depth 2
                                        ;       Child Loop BB0_190 Depth 3
                                        ;     Child Loop BB0_220 Depth 2
	s_waitcnt vmcnt(0) lgkmcnt(0)
	flat_load_b32 v20, v[66:67]
	v_sub_co_u32 v18, vcc_lo, v8, v86
	v_sub_co_ci_u32_e32 v19, vcc_lo, v9, v87, vcc_lo
	s_delay_alu instid0(VALU_DEP_1) | instskip(SKIP_1) | instid1(VALU_DEP_1)
	v_cmp_lt_u64_e32 vcc_lo, v[64:65], v[18:19]
	v_cndmask_b32_e32 v21, v18, v64, vcc_lo
	v_lshl_add_u32 v18, v21, 2, 12
	s_delay_alu instid0(VALU_DEP_1)
	v_and_b32_e32 v146, 0x7fffff0, v18
	s_and_saveexec_b32 s8, s1
	s_cbranch_execz .LBB0_50
; %bb.33:                               ;   in Loop: Header=BB0_32 Depth=1
	v_add_co_u32 v18, vcc_lo, v16, 1
	v_add_co_ci_u32_e32 v19, vcc_lo, 0, v17, vcc_lo
	v_add_co_u32 v100, vcc_lo, v52, 8
	v_add_co_ci_u32_e32 v101, vcc_lo, 0, v53, vcc_lo
	s_mov_b32 s9, exec_lo
	s_delay_alu instid0(VALU_DEP_1)
	v_cmpx_lt_u64_e64 v[100:101], v[18:19]
	s_cbranch_execz .LBB0_47
; %bb.34:                               ;   in Loop: Header=BB0_32 Depth=1
	s_sleep 1
	flat_load_b64 v[52:53], v[50:51] glc
	v_cmp_eq_u32_e32 vcc_lo, 0, v144
	s_and_saveexec_b32 s10, vcc_lo
	s_cbranch_execz .LBB0_46
; %bb.35:                               ;   in Loop: Header=BB0_32 Depth=1
	v_cndmask_b32_e64 v17, 0, 1, vcc_lo
	s_mov_b32 s18, 0
                                        ; implicit-def: $sgpr19
	s_branch .LBB0_39
.LBB0_36:                               ;   in Loop: Header=BB0_39 Depth=2
	s_or_b32 exec_lo, exec_lo, s22
	s_delay_alu instid0(SALU_CYCLE_1)
	s_or_not1_b32 s22, s23, exec_lo
.LBB0_37:                               ;   in Loop: Header=BB0_39 Depth=2
	s_or_b32 exec_lo, exec_lo, s21
	s_xor_b32 s21, s22, -1
	s_and_not1_b32 s19, s19, exec_lo
	s_and_b32 s21, s21, exec_lo
	s_delay_alu instid0(SALU_CYCLE_1)
	s_or_b32 s19, s19, s21
.LBB0_38:                               ;   in Loop: Header=BB0_39 Depth=2
	s_or_b32 exec_lo, exec_lo, s20
	s_delay_alu instid0(SALU_CYCLE_1) | instskip(NEXT) | instid1(SALU_CYCLE_1)
	s_and_b32 s20, exec_lo, s19
	s_or_b32 s18, s20, s18
	s_delay_alu instid0(SALU_CYCLE_1)
	s_and_not1_b32 exec_lo, exec_lo, s18
	s_cbranch_execz .LBB0_45
.LBB0_39:                               ;   Parent Loop BB0_32 Depth=1
                                        ; =>  This Inner Loop Header: Depth=2
	s_waitcnt vmcnt(0) lgkmcnt(0)
	v_add_co_u32 v100, vcc_lo, v52, 8
	v_add_co_ci_u32_e32 v101, vcc_lo, 0, v53, vcc_lo
	v_mov_b32_e32 v144, 0
	s_or_b32 s19, s19, exec_lo
	s_mov_b32 s20, exec_lo
	s_delay_alu instid0(VALU_DEP_2)
	v_cmpx_lt_u64_e64 v[100:101], v[18:19]
	s_cbranch_execz .LBB0_38
; %bb.40:                               ;   in Loop: Header=BB0_39 Depth=2
	s_sleep 1
	flat_load_b64 v[52:53], v[50:51] glc
	v_dual_mov_b32 v144, 0 :: v_dual_add_nc_u32 v17, 1, v17
	s_mov_b32 s22, -1
	s_mov_b32 s21, exec_lo
	s_delay_alu instid0(VALU_DEP_1)
	v_cmpx_eq_u32_e32 0x2710, v17
	s_cbranch_execz .LBB0_37
; %bb.41:                               ;   in Loop: Header=BB0_39 Depth=2
	s_cbranch_execnz .LBB0_255
; %bb.42:                               ;   in Loop: Header=BB0_39 Depth=2
	ds_load_b64 v[100:101], v0
	v_dual_mov_b32 v17, 0 :: v_dual_mov_b32 v144, 0
	s_mov_b32 s23, -1
	s_mov_b32 s22, exec_lo
	s_waitcnt vmcnt(0) lgkmcnt(0)
	s_waitcnt_vscnt null, 0x0
	flat_load_b32 v54, v[100:101] glc
	s_waitcnt vmcnt(0) lgkmcnt(0)
	buffer_gl1_inv
	buffer_gl0_inv
	v_cmpx_ne_u32_e32 0, v54
	s_cbranch_execz .LBB0_36
; %bb.43:                               ;   in Loop: Header=BB0_39 Depth=2
	ds_store_b32 v0, v54
	s_cbranch_execnz .LBB0_280
; %bb.44:                               ;   in Loop: Header=BB0_39 Depth=2
	v_mov_b32_e32 v144, 1
	s_xor_b32 s23, exec_lo, -1
	s_branch .LBB0_36
.LBB0_45:                               ;   in Loop: Header=BB0_32 Depth=1
	s_or_b32 exec_lo, exec_lo, s18
.LBB0_46:                               ;   in Loop: Header=BB0_32 Depth=1
	s_delay_alu instid0(SALU_CYCLE_1)
	s_or_b32 exec_lo, exec_lo, s10
.LBB0_47:                               ;   in Loop: Header=BB0_32 Depth=1
	s_delay_alu instid0(SALU_CYCLE_1)
	s_or_b32 exec_lo, exec_lo, s9
	s_and_saveexec_b32 s9, s2
	s_cbranch_execz .LBB0_49
; %bb.48:                               ;   in Loop: Header=BB0_32 Depth=1
	v_and_b32_e32 v54, 0x7ffffff8, v16
	v_and_b32_e32 v17, 7, v16
	s_delay_alu instid0(VALU_DEP_2) | instskip(NEXT) | instid1(VALU_DEP_2)
	v_cmp_eq_u64_e32 vcc_lo, 0x7ffffff8, v[54:55]
	v_mad_u64_u32 v[100:101], null, v17, 24, v[14:15]
	v_cndmask_b32_e64 v16, v146, s15, vcc_lo
	s_delay_alu instid0(VALU_DEP_1)
	v_ashrrev_i32_e32 v17, 31, v16
	flat_store_b64 v[100:101], v[16:17] offset:8 dlc
	s_waitcnt_vscnt null, 0x0
.LBB0_49:                               ;   in Loop: Header=BB0_32 Depth=1
	s_or_b32 exec_lo, exec_lo, s9
	v_dual_mov_b32 v16, v18 :: v_dual_mov_b32 v17, v19
.LBB0_50:                               ;   in Loop: Header=BB0_32 Depth=1
	s_or_b32 exec_lo, exec_lo, s8
	s_and_saveexec_b32 s8, s3
	s_cbranch_execz .LBB0_72
; %bb.51:                               ;   in Loop: Header=BB0_32 Depth=1
	s_and_saveexec_b32 s9, s4
	s_delay_alu instid0(SALU_CYCLE_1)
	s_xor_b32 s9, exec_lo, s9
	s_cbranch_execz .LBB0_69
; %bb.52:                               ;   in Loop: Header=BB0_32 Depth=1
	s_and_saveexec_b32 s10, s5
	s_cbranch_execz .LBB0_68
; %bb.53:                               ;   in Loop: Header=BB0_32 Depth=1
	s_mov_b32 s19, exec_lo
	s_mov_b32 s18, exec_lo
	v_mbcnt_lo_u32_b32 v18, s19, 0
	s_waitcnt vmcnt(0) lgkmcnt(0)
	s_waitcnt_vscnt null, 0x0
	buffer_gl1_inv
	buffer_gl0_inv
	v_cmpx_eq_u32_e32 0, v18
	s_cbranch_execz .LBB0_55
; %bb.54:                               ;   in Loop: Header=BB0_32 Depth=1
	s_bcnt1_i32_b32 s19, s19
	s_delay_alu instid0(SALU_CYCLE_1)
	v_mov_b32_e32 v54, s19
	ds_add_u64 v0, v[54:55]
	s_cbranch_execnz .LBB0_274
.LBB0_55:                               ;   in Loop: Header=BB0_32 Depth=1
	s_or_b32 exec_lo, exec_lo, s18
	s_cbranch_execnz .LBB0_261
; %bb.56:                               ;   in Loop: Header=BB0_32 Depth=1
	ds_load_b64 v[18:19], v0
	v_add_co_u32 v2, vcc_lo, v2, v118
	v_add_co_ci_u32_e32 v3, vcc_lo, v3, v69, vcc_lo
	s_mov_b32 s18, exec_lo
	s_waitcnt lgkmcnt(0)
	s_delay_alu instid0(VALU_DEP_1)
	v_cmpx_lt_u64_e64 v[18:19], v[2:3]
	s_cbranch_execz .LBB0_67
; %bb.57:                               ;   in Loop: Header=BB0_32 Depth=1
	s_mov_b32 s19, 0
	s_mov_b32 s22, 0
                                        ; implicit-def: $sgpr20
                                        ; implicit-def: $sgpr21
	s_branch .LBB0_59
.LBB0_58:                               ;   in Loop: Header=BB0_59 Depth=2
	s_or_b32 exec_lo, exec_lo, s25
	s_delay_alu instid0(SALU_CYCLE_1) | instskip(NEXT) | instid1(SALU_CYCLE_1)
	s_and_b32 s23, exec_lo, s24
	s_or_b32 s19, s23, s19
	s_and_not1_b32 s20, s20, exec_lo
	s_and_b32 s23, s21, exec_lo
	s_delay_alu instid0(SALU_CYCLE_1)
	s_or_b32 s20, s20, s23
	s_and_not1_b32 exec_lo, exec_lo, s19
	s_cbranch_execz .LBB0_65
.LBB0_59:                               ;   Parent Loop BB0_32 Depth=1
                                        ; =>  This Inner Loop Header: Depth=2
	s_add_i32 s22, s22, 1
                                        ; implicit-def: $sgpr24
	s_delay_alu instid0(SALU_CYCLE_1) | instskip(SKIP_1) | instid1(SALU_CYCLE_1)
	s_cmpk_lg_i32 s22, 0x2710
	s_cselect_b32 s23, -1, 0
	s_and_b32 vcc_lo, exec_lo, s23
	s_cbranch_vccz .LBB0_63
.LBB0_60:                               ;   in Loop: Header=BB0_59 Depth=2
	s_and_not1_b32 s21, s21, exec_lo
	s_and_b32 s25, s24, exec_lo
	s_mov_b32 s24, -1
	s_or_b32 s21, s21, s25
	s_and_saveexec_b32 s25, s23
	s_cbranch_execz .LBB0_58
; %bb.61:                               ;   in Loop: Header=BB0_59 Depth=2
	s_sleep 1
	s_cbranch_execnz .LBB0_288
; %bb.62:                               ;   in Loop: Header=BB0_59 Depth=2
	ds_load_b64 v[18:19], v0
	s_and_not1_b32 s21, s21, exec_lo
	s_waitcnt lgkmcnt(0)
	v_cmp_ge_u64_e32 vcc_lo, v[18:19], v[2:3]
	s_or_not1_b32 s24, vcc_lo, exec_lo
	s_branch .LBB0_58
.LBB0_63:                               ;   in Loop: Header=BB0_59 Depth=2
	s_cbranch_execnz .LBB0_296
; %bb.64:                               ;   in Loop: Header=BB0_59 Depth=2
	ds_load_b64 v[18:19], v0
	s_and_not1_b32 s23, s23, exec_lo
	s_mov_b32 s22, 0
	s_mov_b32 s24, -1
	s_waitcnt lgkmcnt(0)
	flat_load_b32 v18, v[18:19] glc
	s_waitcnt vmcnt(0) lgkmcnt(0)
	buffer_gl1_inv
	buffer_gl0_inv
	v_cmp_eq_u32_e32 vcc_lo, 0, v18
	s_and_b32 s25, vcc_lo, exec_lo
	s_delay_alu instid0(SALU_CYCLE_1)
	s_or_b32 s23, s23, s25
	s_branch .LBB0_60
.LBB0_65:                               ;   in Loop: Header=BB0_32 Depth=1
	s_or_b32 exec_lo, exec_lo, s19
	s_and_saveexec_b32 s19, s20
	s_delay_alu instid0(SALU_CYCLE_1)
	s_xor_b32 s19, exec_lo, s19
	s_cbranch_execz .LBB0_67
; %bb.66:                               ;   in Loop: Header=BB0_32 Depth=1
	ds_store_b32 v0, v135
	s_cbranch_execnz .LBB0_321
.LBB0_67:                               ;   in Loop: Header=BB0_32 Depth=1
	s_or_b32 exec_lo, exec_lo, s18
	;;#ASMSTART
	s_wakeup
	;;#ASMEND
.LBB0_68:                               ;   in Loop: Header=BB0_32 Depth=1
	s_or_b32 exec_lo, exec_lo, s10
.LBB0_69:                               ;   in Loop: Header=BB0_32 Depth=1
	s_and_not1_saveexec_b32 s9, s9
	s_cbranch_execz .LBB0_71
; %bb.70:                               ;   in Loop: Header=BB0_32 Depth=1
	s_waitcnt vmcnt(0) lgkmcnt(0)
	s_waitcnt_vscnt null, 0x0
	buffer_gl1_inv
	buffer_gl0_inv
	s_barrier
.LBB0_71:                               ;   in Loop: Header=BB0_32 Depth=1
	s_or_b32 exec_lo, exec_lo, s9
.LBB0_72:                               ;   in Loop: Header=BB0_32 Depth=1
	s_delay_alu instid0(SALU_CYCLE_1) | instskip(SKIP_2) | instid1(VALU_DEP_2)
	s_or_b32 exec_lo, exec_lo, s8
	v_sub_nc_u32_e32 v145, v21, v68
	v_mov_b32_e32 v100, v4
	v_cmp_lt_i32_e64 s8, 0, v145
	s_delay_alu instid0(VALU_DEP_1)
	s_and_saveexec_b32 s10, s8
	s_cbranch_execz .LBB0_80
; %bb.73:                               ;   in Loop: Header=BB0_32 Depth=1
	v_and_b32_e32 v18, 7, v98
	s_waitcnt vmcnt(0) lgkmcnt(0)
	v_ashrrev_i32_e32 v21, 31, v20
	v_mov_b32_e32 v100, v98
	v_mad_u64_u32 v[101:102], null, v82, v20, v[10:11]
	v_mul_lo_u32 v18, v18, s13
	v_mul_lo_u32 v114, v83, v20
	;; [unrolled: 1-line block ×3, first 2 shown]
	v_mad_u64_u32 v[112:113], null, v71, v20, v[0:1]
	v_add_co_u32 v103, vcc_lo, 0, 0
	v_mov_b32_e32 v54, v145
	v_ashrrev_i32_e32 v19, 31, v18
	s_mov_b32 s18, 0
	v_add3_u32 v102, v114, v102, v115
	s_delay_alu instid0(VALU_DEP_2) | instskip(SKIP_2) | instid1(VALU_DEP_3)
	v_lshlrev_b64 v[20:21], 4, v[18:19]
	v_add_co_ci_u32_e32 v19, vcc_lo, 1, v100, vcc_lo
	v_mov_b32_e32 v100, v4
	v_add_co_u32 v113, vcc_lo, v133, v20
	s_delay_alu instid0(VALU_DEP_4)
	v_add_co_ci_u32_e32 v114, vcc_lo, v134, v21, vcc_lo
	s_branch .LBB0_75
.LBB0_74:                               ;   in Loop: Header=BB0_75 Depth=2
	s_or_b32 exec_lo, exec_lo, s9
	s_waitcnt vmcnt(0) lgkmcnt(0)
	v_alignbit_b32 v18, v147, v18, v112
	v_alignbit_b32 v20, v117, v147, v112
	v_dual_mov_b32 v21, v19 :: v_dual_add_nc_u32 v100, v100, v1
	v_sub_nc_u32_e32 v54, v54, v70
	s_delay_alu instid0(VALU_DEP_4) | instskip(NEXT) | instid1(VALU_DEP_4)
	v_or_b32_e32 v18, v103, v18
	v_or_b32_e32 v20, v103, v20
	v_add_co_u32 v101, vcc_lo, v101, v84
	v_add_co_ci_u32_e32 v102, vcc_lo, v102, v85, vcc_lo
	global_store_b128 v[113:114], v[18:21], off
	v_cmp_gt_i32_e32 vcc_lo, 1, v54
	v_add_co_u32 v113, s9, v113, v96
	v_add_nc_u32_e32 v112, v112, v132
	v_add_co_ci_u32_e64 v114, s9, v114, v97, s9
	s_or_b32 s18, vcc_lo, s18
	s_delay_alu instid0(SALU_CYCLE_1)
	s_and_not1_b32 exec_lo, exec_lo, s18
	s_cbranch_execz .LBB0_79
.LBB0_75:                               ;   Parent Loop BB0_32 Depth=1
                                        ; =>  This Inner Loop Header: Depth=2
	v_dual_mov_b32 v21, v102 :: v_dual_and_b32 v20, -4, v101
	v_min_u32_e32 v115, 4, v54
	v_dual_mov_b32 v117, 0 :: v_dual_and_b32 v116, 3, v101
	v_mov_b32_e32 v147, 0
	flat_load_b32 v18, v[20:21] glc
	v_lshlrev_b32_e32 v115, 1, v115
	s_delay_alu instid0(VALU_DEP_1) | instskip(NEXT) | instid1(VALU_DEP_1)
	v_add_co_u32 v115, s9, v116, v115
	v_add_co_ci_u32_e64 v116, null, 0, 0, s9
	s_mov_b32 s9, exec_lo
	s_delay_alu instid0(VALU_DEP_1)
	v_cmpx_lt_u64_e32 4, v[115:116]
	s_cbranch_execz .LBB0_77
; %bb.76:                               ;   in Loop: Header=BB0_75 Depth=2
	flat_load_b32 v147, v[20:21] offset:4 glc
.LBB0_77:                               ;   in Loop: Header=BB0_75 Depth=2
	s_or_b32 exec_lo, exec_lo, s9
	s_delay_alu instid0(SALU_CYCLE_1)
	s_mov_b32 s9, exec_lo
	v_cmpx_lt_u64_e32 8, v[115:116]
	s_cbranch_execz .LBB0_74
; %bb.78:                               ;   in Loop: Header=BB0_75 Depth=2
	flat_load_b32 v117, v[20:21] offset:8 glc
	s_branch .LBB0_74
.LBB0_79:                               ;   in Loop: Header=BB0_32 Depth=1
	s_or_b32 exec_lo, exec_lo, s18
.LBB0_80:                               ;   in Loop: Header=BB0_32 Depth=1
	s_delay_alu instid0(SALU_CYCLE_1) | instskip(SKIP_2) | instid1(VALU_DEP_2)
	s_or_b32 exec_lo, exec_lo, s10
	v_and_b32_e32 v54, 0x7ffffff8, v98
	v_cmp_gt_i32_e64 s9, s13, v100
	v_cmp_eq_u64_e32 vcc_lo, 0x7ffffff8, v[54:55]
	s_delay_alu instid0(VALU_DEP_2) | instskip(NEXT) | instid1(SALU_CYCLE_1)
	s_and_b32 s9, vcc_lo, s9
	s_and_saveexec_b32 s10, s9
	s_cbranch_execz .LBB0_83
; %bb.81:                               ;   in Loop: Header=BB0_32 Depth=1
	v_and_b32_e32 v18, 7, v98
	v_ashrrev_i32_e32 v101, 31, v100
	v_mov_b32_e32 v54, v98
	s_mov_b32 s18, 0
	s_delay_alu instid0(VALU_DEP_3) | instskip(SKIP_2) | instid1(VALU_DEP_2)
	v_mul_lo_u32 v18, v18, s13
	s_waitcnt vmcnt(0) lgkmcnt(0)
	v_lshlrev_b64 v[20:21], 4, v[100:101]
	v_ashrrev_i32_e32 v19, 31, v18
	s_delay_alu instid0(VALU_DEP_1) | instskip(NEXT) | instid1(VALU_DEP_1)
	v_lshlrev_b64 v[18:19], 4, v[18:19]
	v_add_co_u32 v20, vcc_lo, v20, v18
	s_delay_alu instid0(VALU_DEP_2) | instskip(SKIP_2) | instid1(VALU_DEP_4)
	v_add_co_ci_u32_e32 v21, vcc_lo, v21, v19, vcc_lo
	v_add_co_u32 v18, vcc_lo, 0, 0
	v_add_co_ci_u32_e32 v19, vcc_lo, 1, v54, vcc_lo
	v_add_co_u32 v101, vcc_lo, v38, v20
	s_delay_alu instid0(VALU_DEP_4)
	v_add_co_ci_u32_e32 v102, vcc_lo, v39, v21, vcc_lo
.LBB0_82:                               ;   Parent Loop BB0_32 Depth=1
                                        ; =>  This Inner Loop Header: Depth=2
	s_delay_alu instid0(VALU_DEP_3) | instskip(SKIP_4) | instid1(VALU_DEP_1)
	v_dual_mov_b32 v20, v18 :: v_dual_mov_b32 v21, v19
	v_add_nc_u32_e32 v100, v100, v1
	global_store_b128 v[101:102], v[18:21], off
	v_cmp_le_i32_e32 vcc_lo, s13, v100
	v_add_co_u32 v101, s9, v101, v96
	v_add_co_ci_u32_e64 v102, s9, v102, v97, s9
	s_or_b32 s18, vcc_lo, s18
	s_delay_alu instid0(SALU_CYCLE_1)
	s_and_not1_b32 exec_lo, exec_lo, s18
	s_cbranch_execnz .LBB0_82
.LBB0_83:                               ;   in Loop: Header=BB0_32 Depth=1
	s_or_b32 exec_lo, exec_lo, s10
	v_add_co_u32 v100, vcc_lo, v86, v24
	v_add_co_ci_u32_e32 v101, vcc_lo, v87, v25, vcc_lo
	v_add_co_u32 v102, vcc_lo, v98, 1
	v_add_co_ci_u32_e32 v103, vcc_lo, 0, v99, vcc_lo
	s_and_not1_b32 vcc_lo, exec_lo, s17
	s_cbranch_vccnz .LBB0_179
; %bb.84:                               ;   in Loop: Header=BB0_32 Depth=1
	v_lshlrev_b64 v[18:19], 1, v[100:101]
	v_add_nc_u16 v149, v98, 1
	s_mov_b32 s18, 2
	s_delay_alu instid0(VALU_DEP_2) | instskip(NEXT) | instid1(VALU_DEP_3)
	v_add_co_u32 v147, vcc_lo, v119, v18
	v_add_co_ci_u32_e32 v148, vcc_lo, v128, v19, vcc_lo
.LBB0_85:                               ;   Parent Loop BB0_32 Depth=1
                                        ; =>  This Loop Header: Depth=2
                                        ;       Child Loop BB0_92 Depth 3
                                        ;       Child Loop BB0_112 Depth 3
	;; [unrolled: 1-line block ×3, first 2 shown]
                                        ;         Child Loop BB0_138 Depth 4
                                        ;       Child Loop BB0_160 Depth 3
                                        ;       Child Loop BB0_177 Depth 3
	s_sub_i32 s20, s14, s18
	s_delay_alu instid0(SALU_CYCLE_1) | instskip(NEXT) | instid1(SALU_CYCLE_1)
	s_ashr_i32 s21, s20, 31
	s_lshl_b64 s[20:21], s[20:21], 2
	s_delay_alu instid0(SALU_CYCLE_1)
	v_add_co_u32 v18, vcc_lo, v22, s20
	v_add_co_ci_u32_e32 v19, vcc_lo, s21, v23, vcc_lo
	s_waitcnt vmcnt(0) lgkmcnt(0)
	flat_load_b32 v20, v[18:19]
	s_and_saveexec_b32 s9, s1
	s_cbranch_execz .LBB0_103
; %bb.86:                               ;   in Loop: Header=BB0_85 Depth=2
	v_add_co_u32 v18, vcc_lo, v16, 1
	v_add_co_ci_u32_e32 v19, vcc_lo, 0, v17, vcc_lo
	v_add_co_u32 v98, vcc_lo, v52, 8
	v_add_co_ci_u32_e32 v99, vcc_lo, 0, v53, vcc_lo
	s_mov_b32 s10, exec_lo
	s_delay_alu instid0(VALU_DEP_1)
	v_cmpx_lt_u64_e64 v[98:99], v[18:19]
	s_cbranch_execz .LBB0_100
; %bb.87:                               ;   in Loop: Header=BB0_85 Depth=2
	s_sleep 1
	flat_load_b64 v[52:53], v[50:51] glc
	v_cmp_eq_u32_e32 vcc_lo, 0, v144
	s_and_saveexec_b32 s19, vcc_lo
	s_cbranch_execz .LBB0_99
; %bb.88:                               ;   in Loop: Header=BB0_85 Depth=2
	v_cndmask_b32_e64 v17, 0, 1, vcc_lo
	s_mov_b32 s20, 0
                                        ; implicit-def: $sgpr21
	s_branch .LBB0_92
.LBB0_89:                               ;   in Loop: Header=BB0_92 Depth=3
	s_or_b32 exec_lo, exec_lo, s24
	s_delay_alu instid0(SALU_CYCLE_1)
	s_or_not1_b32 s24, s25, exec_lo
.LBB0_90:                               ;   in Loop: Header=BB0_92 Depth=3
	s_or_b32 exec_lo, exec_lo, s23
	s_xor_b32 s23, s24, -1
	s_and_not1_b32 s21, s21, exec_lo
	s_and_b32 s23, s23, exec_lo
	s_delay_alu instid0(SALU_CYCLE_1)
	s_or_b32 s21, s21, s23
.LBB0_91:                               ;   in Loop: Header=BB0_92 Depth=3
	s_or_b32 exec_lo, exec_lo, s22
	s_delay_alu instid0(SALU_CYCLE_1) | instskip(NEXT) | instid1(SALU_CYCLE_1)
	s_and_b32 s22, exec_lo, s21
	s_or_b32 s20, s22, s20
	s_delay_alu instid0(SALU_CYCLE_1)
	s_and_not1_b32 exec_lo, exec_lo, s20
	s_cbranch_execz .LBB0_98
.LBB0_92:                               ;   Parent Loop BB0_32 Depth=1
                                        ;     Parent Loop BB0_85 Depth=2
                                        ; =>    This Inner Loop Header: Depth=3
	s_waitcnt vmcnt(0) lgkmcnt(0)
	v_add_co_u32 v98, vcc_lo, v52, 8
	v_add_co_ci_u32_e32 v99, vcc_lo, 0, v53, vcc_lo
	v_mov_b32_e32 v144, 0
	s_or_b32 s21, s21, exec_lo
	s_mov_b32 s22, exec_lo
	s_delay_alu instid0(VALU_DEP_2)
	v_cmpx_lt_u64_e64 v[98:99], v[18:19]
	s_cbranch_execz .LBB0_91
; %bb.93:                               ;   in Loop: Header=BB0_92 Depth=3
	s_sleep 1
	flat_load_b64 v[52:53], v[50:51] glc
	v_dual_mov_b32 v144, 0 :: v_dual_add_nc_u32 v17, 1, v17
	s_mov_b32 s24, -1
	s_mov_b32 s23, exec_lo
	s_delay_alu instid0(VALU_DEP_1)
	v_cmpx_eq_u32_e32 0x2710, v17
	s_cbranch_execz .LBB0_90
; %bb.94:                               ;   in Loop: Header=BB0_92 Depth=3
	s_cbranch_execnz .LBB0_257
; %bb.95:                               ;   in Loop: Header=BB0_92 Depth=3
	ds_load_b64 v[98:99], v0
	v_dual_mov_b32 v17, 0 :: v_dual_mov_b32 v144, 0
	s_mov_b32 s25, -1
	s_mov_b32 s24, exec_lo
	s_waitcnt vmcnt(0) lgkmcnt(0)
	s_waitcnt_vscnt null, 0x0
	flat_load_b32 v21, v[98:99] glc
	s_waitcnt vmcnt(0) lgkmcnt(0)
	buffer_gl1_inv
	buffer_gl0_inv
	v_cmpx_ne_u32_e32 0, v21
	s_cbranch_execz .LBB0_89
; %bb.96:                               ;   in Loop: Header=BB0_92 Depth=3
	ds_store_b32 v0, v21
	s_cbranch_execnz .LBB0_284
; %bb.97:                               ;   in Loop: Header=BB0_92 Depth=3
	v_mov_b32_e32 v144, 1
	s_xor_b32 s25, exec_lo, -1
	s_branch .LBB0_89
.LBB0_98:                               ;   in Loop: Header=BB0_85 Depth=2
	s_or_b32 exec_lo, exec_lo, s20
.LBB0_99:                               ;   in Loop: Header=BB0_85 Depth=2
	s_delay_alu instid0(SALU_CYCLE_1)
	s_or_b32 exec_lo, exec_lo, s19
.LBB0_100:                              ;   in Loop: Header=BB0_85 Depth=2
	s_delay_alu instid0(SALU_CYCLE_1)
	s_or_b32 exec_lo, exec_lo, s10
	s_and_saveexec_b32 s10, s2
	s_cbranch_execz .LBB0_102
; %bb.101:                              ;   in Loop: Header=BB0_85 Depth=2
	v_and_b32_e32 v54, 0x7ffffff8, v16
	v_and_b32_e32 v17, 7, v16
	s_delay_alu instid0(VALU_DEP_2) | instskip(NEXT) | instid1(VALU_DEP_2)
	v_cmp_eq_u64_e32 vcc_lo, 0x7ffffff8, v[54:55]
	v_mad_u64_u32 v[98:99], null, v17, 24, v[14:15]
	v_cndmask_b32_e64 v16, v146, s15, vcc_lo
	s_delay_alu instid0(VALU_DEP_1)
	v_ashrrev_i32_e32 v17, 31, v16
	flat_store_b64 v[98:99], v[16:17] offset:8 dlc
	s_waitcnt_vscnt null, 0x0
.LBB0_102:                              ;   in Loop: Header=BB0_85 Depth=2
	s_or_b32 exec_lo, exec_lo, s10
	v_dual_mov_b32 v16, v18 :: v_dual_mov_b32 v17, v19
.LBB0_103:                              ;   in Loop: Header=BB0_85 Depth=2
	s_or_b32 exec_lo, exec_lo, s9
	s_and_saveexec_b32 s9, s3
	s_cbranch_execz .LBB0_125
; %bb.104:                              ;   in Loop: Header=BB0_85 Depth=2
	s_and_saveexec_b32 s10, s4
	s_delay_alu instid0(SALU_CYCLE_1)
	s_xor_b32 s10, exec_lo, s10
	s_cbranch_execz .LBB0_122
; %bb.105:                              ;   in Loop: Header=BB0_85 Depth=2
	s_and_saveexec_b32 s19, s5
	s_cbranch_execz .LBB0_121
; %bb.106:                              ;   in Loop: Header=BB0_85 Depth=2
	s_mov_b32 s21, exec_lo
	s_mov_b32 s20, exec_lo
	v_mbcnt_lo_u32_b32 v18, s21, 0
	s_waitcnt vmcnt(0) lgkmcnt(0)
	s_waitcnt_vscnt null, 0x0
	buffer_gl1_inv
	buffer_gl0_inv
	v_cmpx_eq_u32_e32 0, v18
	s_cbranch_execz .LBB0_108
; %bb.107:                              ;   in Loop: Header=BB0_85 Depth=2
	s_bcnt1_i32_b32 s21, s21
	s_delay_alu instid0(SALU_CYCLE_1)
	v_mov_b32_e32 v54, s21
	ds_add_u64 v0, v[54:55]
	s_cbranch_execnz .LBB0_282
.LBB0_108:                              ;   in Loop: Header=BB0_85 Depth=2
	s_or_b32 exec_lo, exec_lo, s20
	s_cbranch_execnz .LBB0_276
; %bb.109:                              ;   in Loop: Header=BB0_85 Depth=2
	ds_load_b64 v[18:19], v0
	v_add_co_u32 v2, vcc_lo, v2, v118
	v_add_co_ci_u32_e32 v3, vcc_lo, v3, v69, vcc_lo
	s_mov_b32 s20, exec_lo
	s_waitcnt lgkmcnt(0)
	s_delay_alu instid0(VALU_DEP_1)
	v_cmpx_lt_u64_e64 v[18:19], v[2:3]
	s_cbranch_execz .LBB0_120
; %bb.110:                              ;   in Loop: Header=BB0_85 Depth=2
	s_mov_b32 s21, 0
	s_mov_b32 s24, 0
                                        ; implicit-def: $sgpr22
                                        ; implicit-def: $sgpr23
	s_branch .LBB0_112
.LBB0_111:                              ;   in Loop: Header=BB0_112 Depth=3
	s_or_b32 exec_lo, exec_lo, s27
	s_delay_alu instid0(SALU_CYCLE_1) | instskip(NEXT) | instid1(SALU_CYCLE_1)
	s_and_b32 s25, exec_lo, s26
	s_or_b32 s21, s25, s21
	s_and_not1_b32 s22, s22, exec_lo
	s_and_b32 s25, s23, exec_lo
	s_delay_alu instid0(SALU_CYCLE_1)
	s_or_b32 s22, s22, s25
	s_and_not1_b32 exec_lo, exec_lo, s21
	s_cbranch_execz .LBB0_118
.LBB0_112:                              ;   Parent Loop BB0_32 Depth=1
                                        ;     Parent Loop BB0_85 Depth=2
                                        ; =>    This Inner Loop Header: Depth=3
	s_add_i32 s24, s24, 1
                                        ; implicit-def: $sgpr26
	s_delay_alu instid0(SALU_CYCLE_1) | instskip(SKIP_1) | instid1(SALU_CYCLE_1)
	s_cmpk_lg_i32 s24, 0x2710
	s_cselect_b32 s25, -1, 0
	s_and_b32 vcc_lo, exec_lo, s25
	s_cbranch_vccz .LBB0_116
.LBB0_113:                              ;   in Loop: Header=BB0_112 Depth=3
	s_and_not1_b32 s23, s23, exec_lo
	s_and_b32 s27, s26, exec_lo
	s_mov_b32 s26, -1
	s_or_b32 s23, s23, s27
	s_and_saveexec_b32 s27, s25
	s_cbranch_execz .LBB0_111
; %bb.114:                              ;   in Loop: Header=BB0_112 Depth=3
	s_sleep 1
	s_cbranch_execnz .LBB0_300
; %bb.115:                              ;   in Loop: Header=BB0_112 Depth=3
	ds_load_b64 v[18:19], v0
	s_and_not1_b32 s23, s23, exec_lo
	s_waitcnt lgkmcnt(0)
	v_cmp_ge_u64_e32 vcc_lo, v[18:19], v[2:3]
	s_or_not1_b32 s26, vcc_lo, exec_lo
	s_branch .LBB0_111
.LBB0_116:                              ;   in Loop: Header=BB0_112 Depth=3
	s_cbranch_execnz .LBB0_304
; %bb.117:                              ;   in Loop: Header=BB0_112 Depth=3
	ds_load_b64 v[18:19], v0
	s_and_not1_b32 s25, s25, exec_lo
	s_mov_b32 s24, 0
	s_mov_b32 s26, -1
	s_waitcnt lgkmcnt(0)
	flat_load_b32 v18, v[18:19] glc
	s_waitcnt vmcnt(0) lgkmcnt(0)
	buffer_gl1_inv
	buffer_gl0_inv
	v_cmp_eq_u32_e32 vcc_lo, 0, v18
	s_and_b32 s27, vcc_lo, exec_lo
	s_delay_alu instid0(SALU_CYCLE_1)
	s_or_b32 s25, s25, s27
	s_branch .LBB0_113
.LBB0_118:                              ;   in Loop: Header=BB0_85 Depth=2
	s_or_b32 exec_lo, exec_lo, s21
	s_and_saveexec_b32 s21, s22
	s_delay_alu instid0(SALU_CYCLE_1)
	s_xor_b32 s21, exec_lo, s21
	s_cbranch_execz .LBB0_120
; %bb.119:                              ;   in Loop: Header=BB0_85 Depth=2
	ds_store_b32 v0, v135
	s_cbranch_execnz .LBB0_325
.LBB0_120:                              ;   in Loop: Header=BB0_85 Depth=2
	s_or_b32 exec_lo, exec_lo, s20
	;;#ASMSTART
	s_wakeup
	;;#ASMEND
.LBB0_121:                              ;   in Loop: Header=BB0_85 Depth=2
	s_or_b32 exec_lo, exec_lo, s19
.LBB0_122:                              ;   in Loop: Header=BB0_85 Depth=2
	s_and_not1_saveexec_b32 s10, s10
	s_cbranch_execz .LBB0_124
; %bb.123:                              ;   in Loop: Header=BB0_85 Depth=2
	s_waitcnt vmcnt(0) lgkmcnt(0)
	s_waitcnt_vscnt null, 0x0
	buffer_gl1_inv
	buffer_gl0_inv
	s_barrier
.LBB0_124:                              ;   in Loop: Header=BB0_85 Depth=2
	s_or_b32 exec_lo, exec_lo, s10
.LBB0_125:                              ;   in Loop: Header=BB0_85 Depth=2
	s_delay_alu instid0(SALU_CYCLE_1)
	s_or_b32 exec_lo, exec_lo, s9
	v_mov_b32_e32 v98, v4
	s_and_saveexec_b32 s19, s8
	s_cbranch_execz .LBB0_151
; %bb.126:                              ;   in Loop: Header=BB0_85 Depth=2
	s_waitcnt vmcnt(0) lgkmcnt(0)
	v_ashrrev_i32_e32 v21, 31, v20
	v_mul_lo_u32 v54, v7, v20
	v_mad_u64_u32 v[18:19], null, v6, v20, 0
	v_and_b32_e32 v20, 7, v32
	s_delay_alu instid0(VALU_DEP_4)
	v_mul_lo_u32 v21, v6, v21
	v_and_b32_e32 v98, 7, v102
	v_mov_b32_e32 v114, v102
	v_mov_b32_e32 v164, v145
	v_mul_lo_u32 v20, v20, s13
	s_mov_b32 s20, 0
	v_mul_lo_u32 v98, v98, s13
	v_add3_u32 v19, v19, v21, v54
	v_add_nc_u32_e32 v54, 1, v32
	s_delay_alu instid0(VALU_DEP_4) | instskip(NEXT) | instid1(VALU_DEP_3)
	v_ashrrev_i32_e32 v21, 31, v20
	v_lshlrev_b64 v[18:19], 1, v[18:19]
	v_ashrrev_i32_e32 v99, 31, v98
	s_delay_alu instid0(VALU_DEP_3) | instskip(NEXT) | instid1(VALU_DEP_2)
	v_lshlrev_b64 v[20:21], 4, v[20:21]
	v_lshlrev_b64 v[98:99], 4, v[98:99]
	s_delay_alu instid0(VALU_DEP_4) | instskip(SKIP_1) | instid1(VALU_DEP_4)
	v_add_co_u32 v112, vcc_lo, v147, v18
	v_add_co_ci_u32_e32 v113, vcc_lo, v148, v19, vcc_lo
	v_add_co_u32 v150, vcc_lo, v28, v20
	v_add_co_ci_u32_e32 v151, vcc_lo, v29, v21, vcc_lo
	;; [unrolled: 2-line block ×4, first 2 shown]
	v_mov_b32_e32 v98, v4
	s_branch .LBB0_130
.LBB0_127:                              ;   in Loop: Header=BB0_130 Depth=3
	s_or_b32 exec_lo, exec_lo, s9
.LBB0_128:                              ;   in Loop: Header=BB0_130 Depth=3
	s_delay_alu instid0(SALU_CYCLE_1)
	s_or_b32 exec_lo, exec_lo, s10
.LBB0_129:                              ;   in Loop: Header=BB0_130 Depth=3
	s_delay_alu instid0(SALU_CYCLE_1)
	s_or_b32 exec_lo, exec_lo, s21
	v_lshlrev_b32_e32 v19, 3, v112
	v_lshrrev_b32_e32 v117, 16, v20
	v_add_co_u32 v112, vcc_lo, v112, v84
	v_sub_nc_u32_e32 v164, v164, v70
	s_waitcnt vmcnt(0) lgkmcnt(0)
	v_alignbit_b32 v21, v167, v165, v19
	v_alignbit_b32 v116, v166, v167, v19
	v_add_co_ci_u32_e32 v113, vcc_lo, v113, v85, vcc_lo
	v_or3_b32 v19, 0, 0, v163
	s_delay_alu instid0(VALU_DEP_4) | instskip(NEXT) | instid1(VALU_DEP_4)
	v_lshrrev_b32_e32 v166, 16, v21
	v_lshrrev_b32_e32 v165, 16, v116
	v_mul_f16_e32 v20, v116, v20
	v_mul_f16_e32 v18, v21, v18
	v_add_co_u32 v114, vcc_lo, v160, v114
	s_delay_alu instid0(VALU_DEP_4)
	v_mul_f16_e64 v21, v165, v117
	v_mul_f16_e64 v99, v166, v99
	v_and_b32_e32 v20, 0xffff, v20
	v_and_b32_e32 v18, 0xffff, v18
	v_add_co_ci_u32_e32 v115, vcc_lo, v161, v115, vcc_lo
	v_lshlrev_b32_e32 v21, 16, v21
	v_lshlrev_b32_e32 v99, 16, v99
	v_cmp_gt_i32_e32 vcc_lo, 1, v164
	v_add_nc_u32_e32 v98, v98, v1
	s_delay_alu instid0(VALU_DEP_4)
	v_or3_b32 v20, v21, v20, v162
	v_mov_b32_e32 v21, v19
	v_or3_b32 v18, v99, v18, v162
	s_or_b32 s20, vcc_lo, s20
	global_store_b128 v[114:115], v[18:21], off
	s_and_not1_b32 exec_lo, exec_lo, s20
	s_cbranch_execz .LBB0_150
.LBB0_130:                              ;   Parent Loop BB0_32 Depth=1
                                        ;     Parent Loop BB0_85 Depth=2
                                        ; =>    This Loop Header: Depth=3
                                        ;         Child Loop BB0_138 Depth 4
	v_dual_mov_b32 v19, v113 :: v_dual_and_b32 v18, -4, v112
	v_min_u32_e32 v20, 4, v164
	v_dual_mov_b32 v166, 0 :: v_dual_and_b32 v21, 3, v112
	v_mov_b32_e32 v167, 0
	flat_load_b32 v165, v[18:19] glc
	v_lshlrev_b32_e32 v20, 1, v20
	s_delay_alu instid0(VALU_DEP_1) | instskip(NEXT) | instid1(VALU_DEP_1)
	v_add_co_u32 v20, s9, v21, v20
	v_add_co_ci_u32_e64 v21, null, 0, 0, s9
	s_mov_b32 s9, exec_lo
	s_delay_alu instid0(VALU_DEP_1)
	v_cmpx_lt_u64_e32 4, v[20:21]
	s_cbranch_execz .LBB0_132
; %bb.131:                              ;   in Loop: Header=BB0_130 Depth=3
	flat_load_b32 v167, v[18:19] offset:4 glc
.LBB0_132:                              ;   in Loop: Header=BB0_130 Depth=3
	s_or_b32 exec_lo, exec_lo, s9
	s_delay_alu instid0(SALU_CYCLE_1)
	s_mov_b32 s9, exec_lo
	v_cmpx_lt_u64_e32 8, v[20:21]
	s_cbranch_execz .LBB0_134
; %bb.133:                              ;   in Loop: Header=BB0_130 Depth=3
	flat_load_b32 v166, v[18:19] offset:8 glc
.LBB0_134:                              ;   in Loop: Header=BB0_130 Depth=3
	s_or_b32 exec_lo, exec_lo, s9
	v_ashrrev_i32_e32 v99, 31, v98
	s_delay_alu instid0(VALU_DEP_1) | instskip(NEXT) | instid1(VALU_DEP_1)
	v_lshlrev_b64 v[114:115], 4, v[98:99]
	v_add_co_u32 v116, vcc_lo, v150, v114
	s_delay_alu instid0(VALU_DEP_2)
	v_add_co_ci_u32_e32 v117, vcc_lo, v151, v115, vcc_lo
	;;#ASMSTART
	global_load_b128 v[18:21], v[116:117], off glc slc dlc
s_waitcnt vmcnt(0)

	;;#ASMEND
	v_cmp_eq_u32_e32 vcc_lo, 0, v144
	v_lshrrev_b32_e32 v99, 16, v18
	s_and_saveexec_b32 s21, vcc_lo
	s_cbranch_execz .LBB0_129
; %bb.135:                              ;   in Loop: Header=BB0_130 Depth=3
	v_cmp_ne_u32_e64 s9, v54, v19
	v_cmp_ne_u32_e64 s10, v54, v21
	v_mov_b32_e32 v144, 0
	s_delay_alu instid0(VALU_DEP_2) | instskip(NEXT) | instid1(SALU_CYCLE_1)
	s_or_b32 s9, s9, s10
	s_and_saveexec_b32 s10, s9
	s_cbranch_execz .LBB0_128
; %bb.136:                              ;   in Loop: Header=BB0_130 Depth=3
	v_cndmask_b32_e64 v99, 0, 1, vcc_lo
	s_mov_b32 s22, 0
                                        ; implicit-def: $sgpr23
                                        ; implicit-def: $sgpr24
	s_branch .LBB0_138
.LBB0_137:                              ;   in Loop: Header=BB0_138 Depth=4
	s_or_b32 exec_lo, exec_lo, s25
	s_delay_alu instid0(SALU_CYCLE_1) | instskip(NEXT) | instid1(SALU_CYCLE_1)
	s_and_b32 s9, exec_lo, s9
	s_or_b32 s22, s9, s22
	s_and_not1_b32 s9, s23, exec_lo
	s_and_b32 s23, s24, exec_lo
	s_delay_alu instid0(SALU_CYCLE_1)
	s_or_b32 s23, s9, s23
	s_and_not1_b32 exec_lo, exec_lo, s22
	s_cbranch_execz .LBB0_146
.LBB0_138:                              ;   Parent Loop BB0_32 Depth=1
                                        ;     Parent Loop BB0_85 Depth=2
                                        ;       Parent Loop BB0_130 Depth=3
                                        ; =>      This Inner Loop Header: Depth=4
	s_delay_alu instid0(VALU_DEP_1)
	v_dual_mov_b32 v144, 0 :: v_dual_add_nc_u32 v99, 1, v99
	s_mov_b32 s9, -1
	s_mov_b32 s26, -1
	s_mov_b32 s25, exec_lo
	;;#ASMSTART
	global_load_b128 v[18:21], v[116:117], off glc slc dlc
s_waitcnt vmcnt(0)

	;;#ASMEND
	v_cmpx_eq_u32_e32 0x2710, v99
	s_cbranch_execz .LBB0_144
; %bb.139:                              ;   in Loop: Header=BB0_138 Depth=4
	s_cbranch_execnz .LBB0_251
; %bb.140:                              ;   in Loop: Header=BB0_138 Depth=4
	ds_load_b64 v[176:177], v0
	v_dual_mov_b32 v99, 0 :: v_dual_mov_b32 v144, 0
	s_mov_b32 s27, -1
	s_mov_b32 s26, exec_lo
	s_waitcnt vmcnt(0) lgkmcnt(0)
	s_waitcnt_vscnt null, 0x0
	flat_load_b32 v176, v[176:177] glc
	s_waitcnt vmcnt(0) lgkmcnt(0)
	buffer_gl1_inv
	buffer_gl0_inv
	v_cmpx_ne_u32_e32 0, v176
	s_cbranch_execz .LBB0_143
; %bb.141:                              ;   in Loop: Header=BB0_138 Depth=4
	ds_store_b32 v0, v176
	s_cbranch_execnz .LBB0_259
; %bb.142:                              ;   in Loop: Header=BB0_138 Depth=4
	v_mov_b32_e32 v144, 1
	s_xor_b32 s27, exec_lo, -1
.LBB0_143:                              ;   in Loop: Header=BB0_138 Depth=4
	s_or_b32 exec_lo, exec_lo, s26
	s_delay_alu instid0(SALU_CYCLE_1)
	s_or_not1_b32 s26, s27, exec_lo
.LBB0_144:                              ;   in Loop: Header=BB0_138 Depth=4
	s_or_b32 exec_lo, exec_lo, s25
	s_delay_alu instid0(SALU_CYCLE_1)
	s_or_b32 s24, s24, exec_lo
	s_and_saveexec_b32 s25, s26
	s_cbranch_execz .LBB0_137
; %bb.145:                              ;   in Loop: Header=BB0_138 Depth=4
	v_cmp_eq_u32_e32 vcc_lo, v54, v19
	v_cmp_eq_u32_e64 s9, v54, v21
	s_and_not1_b32 s24, s24, exec_lo
	s_delay_alu instid0(VALU_DEP_1) | instskip(NEXT) | instid1(SALU_CYCLE_1)
	s_and_b32 s9, vcc_lo, s9
	s_or_not1_b32 s9, s9, exec_lo
	s_branch .LBB0_137
.LBB0_146:                              ;   in Loop: Header=BB0_130 Depth=3
	s_or_b32 exec_lo, exec_lo, s22
	s_xor_b32 s9, s23, -1
                                        ; implicit-def: $vgpr99
	s_delay_alu instid0(SALU_CYCLE_1) | instskip(NEXT) | instid1(SALU_CYCLE_1)
	s_and_saveexec_b32 s22, s9
	s_xor_b32 s9, exec_lo, s22
; %bb.147:                              ;   in Loop: Header=BB0_130 Depth=3
	v_lshrrev_b32_e32 v99, 16, v18
; %bb.148:                              ;   in Loop: Header=BB0_130 Depth=3
	s_and_not1_saveexec_b32 s9, s9
	s_cbranch_execz .LBB0_127
; %bb.149:                              ;   in Loop: Header=BB0_130 Depth=3
	v_lshrrev_b32_e32 v99, 16, v18
	s_branch .LBB0_127
.LBB0_150:                              ;   in Loop: Header=BB0_85 Depth=2
	s_or_b32 exec_lo, exec_lo, s20
.LBB0_151:                              ;   in Loop: Header=BB0_85 Depth=2
	s_delay_alu instid0(SALU_CYCLE_1)
	s_or_b32 exec_lo, exec_lo, s19
	s_and_saveexec_b32 s9, s3
	s_cbranch_execz .LBB0_173
; %bb.152:                              ;   in Loop: Header=BB0_85 Depth=2
	s_and_saveexec_b32 s10, s4
	s_delay_alu instid0(SALU_CYCLE_1)
	s_xor_b32 s10, exec_lo, s10
	s_cbranch_execz .LBB0_170
; %bb.153:                              ;   in Loop: Header=BB0_85 Depth=2
	s_and_saveexec_b32 s19, s5
	s_cbranch_execz .LBB0_169
; %bb.154:                              ;   in Loop: Header=BB0_85 Depth=2
	s_mov_b32 s21, exec_lo
	s_mov_b32 s20, exec_lo
	v_mbcnt_lo_u32_b32 v18, s21, 0
	s_waitcnt vmcnt(0) lgkmcnt(0)
	s_waitcnt_vscnt null, 0x0
	buffer_gl1_inv
	buffer_gl0_inv
	v_cmpx_eq_u32_e32 0, v18
	s_cbranch_execz .LBB0_156
; %bb.155:                              ;   in Loop: Header=BB0_85 Depth=2
	s_bcnt1_i32_b32 s21, s21
	s_delay_alu instid0(SALU_CYCLE_1)
	v_mov_b32_e32 v54, s21
	ds_add_u64 v0, v[54:55]
	s_cbranch_execnz .LBB0_294
.LBB0_156:                              ;   in Loop: Header=BB0_85 Depth=2
	s_or_b32 exec_lo, exec_lo, s20
	s_cbranch_execnz .LBB0_286
; %bb.157:                              ;   in Loop: Header=BB0_85 Depth=2
	ds_load_b64 v[18:19], v0
	v_add_co_u32 v2, vcc_lo, v2, v118
	v_add_co_ci_u32_e32 v3, vcc_lo, v3, v69, vcc_lo
	s_mov_b32 s20, exec_lo
	s_waitcnt lgkmcnt(0)
	s_delay_alu instid0(VALU_DEP_1)
	v_cmpx_lt_u64_e64 v[18:19], v[2:3]
	s_cbranch_execz .LBB0_168
; %bb.158:                              ;   in Loop: Header=BB0_85 Depth=2
	s_mov_b32 s21, 0
	s_mov_b32 s24, 0
                                        ; implicit-def: $sgpr22
                                        ; implicit-def: $sgpr23
	s_branch .LBB0_160
.LBB0_159:                              ;   in Loop: Header=BB0_160 Depth=3
	s_or_b32 exec_lo, exec_lo, s27
	s_delay_alu instid0(SALU_CYCLE_1) | instskip(NEXT) | instid1(SALU_CYCLE_1)
	s_and_b32 s25, exec_lo, s26
	s_or_b32 s21, s25, s21
	s_and_not1_b32 s22, s22, exec_lo
	s_and_b32 s25, s23, exec_lo
	s_delay_alu instid0(SALU_CYCLE_1)
	s_or_b32 s22, s22, s25
	s_and_not1_b32 exec_lo, exec_lo, s21
	s_cbranch_execz .LBB0_166
.LBB0_160:                              ;   Parent Loop BB0_32 Depth=1
                                        ;     Parent Loop BB0_85 Depth=2
                                        ; =>    This Inner Loop Header: Depth=3
	s_add_i32 s24, s24, 1
                                        ; implicit-def: $sgpr26
	s_delay_alu instid0(SALU_CYCLE_1) | instskip(SKIP_1) | instid1(SALU_CYCLE_1)
	s_cmpk_lg_i32 s24, 0x2710
	s_cselect_b32 s25, -1, 0
	s_and_b32 vcc_lo, exec_lo, s25
	s_cbranch_vccz .LBB0_164
.LBB0_161:                              ;   in Loop: Header=BB0_160 Depth=3
	s_and_not1_b32 s23, s23, exec_lo
	s_and_b32 s27, s26, exec_lo
	s_mov_b32 s26, -1
	s_or_b32 s23, s23, s27
	s_and_saveexec_b32 s27, s25
	s_cbranch_execz .LBB0_159
; %bb.162:                              ;   in Loop: Header=BB0_160 Depth=3
	s_sleep 1
	s_cbranch_execnz .LBB0_306
; %bb.163:                              ;   in Loop: Header=BB0_160 Depth=3
	ds_load_b64 v[18:19], v0
	s_and_not1_b32 s23, s23, exec_lo
	s_waitcnt lgkmcnt(0)
	v_cmp_ge_u64_e32 vcc_lo, v[18:19], v[2:3]
	s_or_not1_b32 s26, vcc_lo, exec_lo
	s_branch .LBB0_159
.LBB0_164:                              ;   in Loop: Header=BB0_160 Depth=3
	s_cbranch_execnz .LBB0_308
; %bb.165:                              ;   in Loop: Header=BB0_160 Depth=3
	ds_load_b64 v[18:19], v0
	s_and_not1_b32 s25, s25, exec_lo
	s_mov_b32 s24, 0
	s_mov_b32 s26, -1
	s_waitcnt lgkmcnt(0)
	flat_load_b32 v18, v[18:19] glc
	s_waitcnt vmcnt(0) lgkmcnt(0)
	buffer_gl1_inv
	buffer_gl0_inv
	v_cmp_eq_u32_e32 vcc_lo, 0, v18
	s_and_b32 s27, vcc_lo, exec_lo
	s_delay_alu instid0(SALU_CYCLE_1)
	s_or_b32 s25, s25, s27
	s_branch .LBB0_161
.LBB0_166:                              ;   in Loop: Header=BB0_85 Depth=2
	s_or_b32 exec_lo, exec_lo, s21
	s_and_saveexec_b32 s21, s22
	s_delay_alu instid0(SALU_CYCLE_1)
	s_xor_b32 s21, exec_lo, s21
	s_cbranch_execz .LBB0_168
; %bb.167:                              ;   in Loop: Header=BB0_85 Depth=2
	ds_store_b32 v0, v135
	s_cbranch_execnz .LBB0_327
.LBB0_168:                              ;   in Loop: Header=BB0_85 Depth=2
	s_or_b32 exec_lo, exec_lo, s20
	;;#ASMSTART
	s_wakeup
	;;#ASMEND
.LBB0_169:                              ;   in Loop: Header=BB0_85 Depth=2
	s_or_b32 exec_lo, exec_lo, s19
.LBB0_170:                              ;   in Loop: Header=BB0_85 Depth=2
	s_and_not1_saveexec_b32 s10, s10
	s_cbranch_execz .LBB0_172
; %bb.171:                              ;   in Loop: Header=BB0_85 Depth=2
	s_waitcnt vmcnt(0) lgkmcnt(0)
	s_waitcnt_vscnt null, 0x0
	buffer_gl1_inv
	buffer_gl0_inv
	s_barrier
.LBB0_172:                              ;   in Loop: Header=BB0_85 Depth=2
	s_or_b32 exec_lo, exec_lo, s10
.LBB0_173:                              ;   in Loop: Header=BB0_85 Depth=2
	s_delay_alu instid0(SALU_CYCLE_1)
	s_or_b32 exec_lo, exec_lo, s9
	s_and_saveexec_b32 s9, s6
	s_cbranch_execz .LBB0_175
; %bb.174:                              ;   in Loop: Header=BB0_85 Depth=2
	v_add_co_u32 v48, vcc_lo, v48, 1
	v_add_co_ci_u32_e32 v49, vcc_lo, 0, v49, vcc_lo
	s_waitcnt vmcnt(0) lgkmcnt(0)
	s_waitcnt_vscnt null, 0x0
	flat_store_b64 v[36:37], v[48:49]
.LBB0_175:                              ;   in Loop: Header=BB0_85 Depth=2
	s_or_b32 exec_lo, exec_lo, s9
	v_and_b32_e32 v54, 0x7ffffff8, v102
	v_cmp_gt_i32_e64 s9, s13, v98
	s_delay_alu instid0(VALU_DEP_2) | instskip(NEXT) | instid1(VALU_DEP_2)
	v_cmp_eq_u64_e32 vcc_lo, 0x7ffffff8, v[54:55]
	s_and_b32 s9, vcc_lo, s9
	s_delay_alu instid0(SALU_CYCLE_1)
	s_and_saveexec_b32 s10, s9
	s_cbranch_execz .LBB0_178
; %bb.176:                              ;   in Loop: Header=BB0_85 Depth=2
	v_and_b32_e32 v18, 7, v149
	v_ashrrev_i32_e32 v99, 31, v98
	v_mov_b32_e32 v54, v102
	s_mov_b32 s19, 0
	s_delay_alu instid0(VALU_DEP_3) | instskip(SKIP_2) | instid1(VALU_DEP_2)
	v_mul_lo_u32 v18, s13, v18
	s_waitcnt vmcnt(0) lgkmcnt(0)
	v_lshlrev_b64 v[20:21], 4, v[98:99]
	v_ashrrev_i32_e32 v19, 31, v18
	s_delay_alu instid0(VALU_DEP_1) | instskip(NEXT) | instid1(VALU_DEP_1)
	v_lshlrev_b64 v[18:19], 4, v[18:19]
	v_add_co_u32 v20, vcc_lo, v20, v18
	s_delay_alu instid0(VALU_DEP_2) | instskip(SKIP_2) | instid1(VALU_DEP_4)
	v_add_co_ci_u32_e32 v21, vcc_lo, v21, v19, vcc_lo
	v_add_co_u32 v18, vcc_lo, 0, 0
	v_add_co_ci_u32_e32 v19, vcc_lo, 1, v54, vcc_lo
	v_add_co_u32 v112, vcc_lo, v38, v20
	s_delay_alu instid0(VALU_DEP_4)
	v_add_co_ci_u32_e32 v113, vcc_lo, v39, v21, vcc_lo
.LBB0_177:                              ;   Parent Loop BB0_32 Depth=1
                                        ;     Parent Loop BB0_85 Depth=2
                                        ; =>    This Inner Loop Header: Depth=3
	s_delay_alu instid0(VALU_DEP_3) | instskip(SKIP_4) | instid1(VALU_DEP_1)
	v_dual_mov_b32 v20, v18 :: v_dual_mov_b32 v21, v19
	v_add_nc_u32_e32 v98, v98, v1
	global_store_b128 v[112:113], v[18:21], off
	v_cmp_le_i32_e32 vcc_lo, s13, v98
	v_add_co_u32 v112, s9, v112, v96
	v_add_co_ci_u32_e64 v113, s9, v113, v97, s9
	s_or_b32 s19, vcc_lo, s19
	s_delay_alu instid0(SALU_CYCLE_1)
	s_and_not1_b32 exec_lo, exec_lo, s19
	s_cbranch_execnz .LBB0_177
.LBB0_178:                              ;   in Loop: Header=BB0_85 Depth=2
	s_or_b32 exec_lo, exec_lo, s10
	v_add_co_u32 v32, vcc_lo, v32, 1
	v_add_co_ci_u32_e32 v33, vcc_lo, 0, v33, vcc_lo
	v_add_co_u32 v102, vcc_lo, v102, 1
	v_add_co_ci_u32_e32 v103, vcc_lo, 0, v103, vcc_lo
	v_add_nc_u16 v149, v149, 1
	s_add_i32 s18, s18, 1
	s_delay_alu instid0(SALU_CYCLE_1)
	s_cmp_eq_u32 s18, s14
	s_cbranch_scc0 .LBB0_85
.LBB0_179:                              ;   in Loop: Header=BB0_32 Depth=1
	s_delay_alu instid0(VALU_DEP_1)
	v_dual_mov_b32 v98, v102 :: v_dual_mov_b32 v99, v103
	s_and_saveexec_b32 s10, s8
	s_cbranch_execz .LBB0_211
; %bb.180:                              ;   in Loop: Header=BB0_32 Depth=1
	s_waitcnt vmcnt(0) lgkmcnt(0)
	flat_load_b32 v20, v[22:23]
	v_and_b32_e32 v54, 7, v32
	s_mov_b32 s18, 0
	s_delay_alu instid0(VALU_DEP_1)
	v_mul_lo_u32 v102, v54, s13
	v_add_nc_u32_e32 v54, 1, v32
	s_waitcnt vmcnt(0) lgkmcnt(0)
	v_ashrrev_i32_e32 v21, 31, v20
	v_mul_lo_u32 v103, v7, v20
	v_mad_u64_u32 v[18:19], null, v6, v20, 0
	s_delay_alu instid0(VALU_DEP_3) | instskip(SKIP_1) | instid1(VALU_DEP_2)
	v_mul_lo_u32 v112, v6, v21
	v_lshlrev_b64 v[20:21], 1, v[100:101]
	v_add3_u32 v19, v19, v112, v103
	s_delay_alu instid0(VALU_DEP_2) | instskip(SKIP_1) | instid1(VALU_DEP_4)
	v_add_co_u32 v112, vcc_lo, v12, v20
	v_ashrrev_i32_e32 v103, 31, v102
	v_add_co_ci_u32_e32 v113, vcc_lo, v13, v21, vcc_lo
	s_delay_alu instid0(VALU_DEP_4) | instskip(SKIP_3) | instid1(VALU_DEP_4)
	v_lshlrev_b64 v[18:19], 1, v[18:19]
	v_add_co_u32 v100, vcc_lo, v129, v20
	v_add_co_ci_u32_e32 v101, vcc_lo, v130, v21, vcc_lo
	v_lshlrev_b64 v[20:21], 4, v[102:103]
	v_add_co_u32 v18, vcc_lo, v112, v18
	v_add_co_ci_u32_e32 v19, vcc_lo, v113, v19, vcc_lo
	v_mov_b32_e32 v102, v4
	s_delay_alu instid0(VALU_DEP_4)
	v_add_co_u32 v114, vcc_lo, v28, v20
	v_add_co_ci_u32_e32 v115, vcc_lo, v29, v21, vcc_lo
	v_add_co_u32 v116, vcc_lo, v18, v80
	v_add_co_ci_u32_e32 v117, vcc_lo, v19, v81, vcc_lo
	s_branch .LBB0_182
.LBB0_181:                              ;   in Loop: Header=BB0_182 Depth=2
	v_sub_nc_u32_e32 v145, v145, v70
	v_add_co_u32 v116, vcc_lo, v116, v84
	v_add_co_ci_u32_e32 v117, vcc_lo, v117, v85, vcc_lo
	s_delay_alu instid0(VALU_DEP_3) | instskip(SKIP_1) | instid1(VALU_DEP_1)
	v_cmp_gt_i32_e32 vcc_lo, 1, v145
	v_add_co_u32 v100, s8, v100, v84
	v_add_co_ci_u32_e64 v101, s8, v101, v85, s8
	v_add_nc_u32_e32 v102, v102, v1
	s_or_b32 s18, vcc_lo, s18
	s_delay_alu instid0(SALU_CYCLE_1)
	s_and_not1_b32 exec_lo, exec_lo, s18
	s_cbranch_execz .LBB0_210
.LBB0_182:                              ;   Parent Loop BB0_32 Depth=1
                                        ; =>  This Loop Header: Depth=2
                                        ;       Child Loop BB0_190 Depth 3
	s_delay_alu instid0(VALU_DEP_1)
	v_dual_mov_b32 v19, v117 :: v_dual_and_b32 v18, -4, v116
	v_min_u32_e32 v20, 4, v145
	v_dual_mov_b32 v148, 0 :: v_dual_and_b32 v21, 3, v116
	v_mov_b32_e32 v147, 0
	flat_load_b32 v146, v[18:19] glc
	v_lshlrev_b32_e32 v20, 1, v20
	s_delay_alu instid0(VALU_DEP_1) | instskip(NEXT) | instid1(VALU_DEP_1)
	v_add_co_u32 v20, s8, v21, v20
	v_add_co_ci_u32_e64 v21, null, 0, 0, s8
	s_mov_b32 s8, exec_lo
	s_delay_alu instid0(VALU_DEP_1)
	v_cmpx_lt_u64_e32 4, v[20:21]
	s_cbranch_execz .LBB0_184
; %bb.183:                              ;   in Loop: Header=BB0_182 Depth=2
	flat_load_b32 v148, v[18:19] offset:4 glc
.LBB0_184:                              ;   in Loop: Header=BB0_182 Depth=2
	s_or_b32 exec_lo, exec_lo, s8
	s_delay_alu instid0(SALU_CYCLE_1)
	s_mov_b32 s8, exec_lo
	v_cmpx_lt_u64_e32 8, v[20:21]
	s_cbranch_execz .LBB0_186
; %bb.185:                              ;   in Loop: Header=BB0_182 Depth=2
	flat_load_b32 v147, v[18:19] offset:8 glc
.LBB0_186:                              ;   in Loop: Header=BB0_182 Depth=2
	s_or_b32 exec_lo, exec_lo, s8
	v_ashrrev_i32_e32 v103, 31, v102
	s_delay_alu instid0(VALU_DEP_1) | instskip(NEXT) | instid1(VALU_DEP_1)
	v_lshlrev_b64 v[18:19], 4, v[102:103]
	v_add_co_u32 v112, vcc_lo, v114, v18
	s_delay_alu instid0(VALU_DEP_2)
	v_add_co_ci_u32_e32 v113, vcc_lo, v115, v19, vcc_lo
	;;#ASMSTART
	global_load_b128 v[18:21], v[112:113], off glc slc dlc
s_waitcnt vmcnt(0)

	;;#ASMEND
	v_cmp_eq_u32_e32 vcc_lo, 0, v144
	v_lshrrev_b32_e32 v103, 16, v18
	s_and_saveexec_b32 s19, vcc_lo
	s_cbranch_execz .LBB0_200
; %bb.187:                              ;   in Loop: Header=BB0_182 Depth=2
	v_cmp_ne_u32_e64 s8, v54, v19
	v_cmp_ne_u32_e64 s9, v54, v21
	v_mov_b32_e32 v144, 0
	s_delay_alu instid0(VALU_DEP_2) | instskip(NEXT) | instid1(SALU_CYCLE_1)
	s_or_b32 s8, s8, s9
	s_and_saveexec_b32 s9, s8
	s_cbranch_execz .LBB0_199
; %bb.188:                              ;   in Loop: Header=BB0_182 Depth=2
	v_cndmask_b32_e64 v103, 0, 1, vcc_lo
	s_mov_b32 s20, 0
                                        ; implicit-def: $sgpr21
                                        ; implicit-def: $sgpr22
	s_branch .LBB0_190
.LBB0_189:                              ;   in Loop: Header=BB0_190 Depth=3
	s_or_b32 exec_lo, exec_lo, s23
	s_delay_alu instid0(SALU_CYCLE_1) | instskip(NEXT) | instid1(SALU_CYCLE_1)
	s_and_b32 s8, exec_lo, s8
	s_or_b32 s20, s8, s20
	s_and_not1_b32 s8, s21, exec_lo
	s_and_b32 s21, s22, exec_lo
	s_delay_alu instid0(SALU_CYCLE_1)
	s_or_b32 s21, s8, s21
	s_and_not1_b32 exec_lo, exec_lo, s20
	s_cbranch_execz .LBB0_198
.LBB0_190:                              ;   Parent Loop BB0_32 Depth=1
                                        ;     Parent Loop BB0_182 Depth=2
                                        ; =>    This Inner Loop Header: Depth=3
	s_delay_alu instid0(VALU_DEP_1)
	v_dual_mov_b32 v144, 0 :: v_dual_add_nc_u32 v103, 1, v103
	s_mov_b32 s8, -1
	s_mov_b32 s24, -1
	s_mov_b32 s23, exec_lo
	;;#ASMSTART
	global_load_b128 v[18:21], v[112:113], off glc slc dlc
s_waitcnt vmcnt(0)

	;;#ASMEND
	v_cmpx_eq_u32_e32 0x2710, v103
	s_cbranch_execz .LBB0_196
; %bb.191:                              ;   in Loop: Header=BB0_190 Depth=3
	s_cbranch_execnz .LBB0_253
; %bb.192:                              ;   in Loop: Header=BB0_190 Depth=3
	ds_load_b64 v[149:150], v0
	v_dual_mov_b32 v103, 0 :: v_dual_mov_b32 v144, 0
	s_mov_b32 s25, -1
	s_mov_b32 s24, exec_lo
	s_waitcnt vmcnt(0) lgkmcnt(0)
	s_waitcnt_vscnt null, 0x0
	flat_load_b32 v149, v[149:150] glc
	s_waitcnt vmcnt(0) lgkmcnt(0)
	buffer_gl1_inv
	buffer_gl0_inv
	v_cmpx_ne_u32_e32 0, v149
	s_cbranch_execz .LBB0_195
; %bb.193:                              ;   in Loop: Header=BB0_190 Depth=3
	ds_store_b32 v0, v149
	s_cbranch_execnz .LBB0_265
; %bb.194:                              ;   in Loop: Header=BB0_190 Depth=3
	v_mov_b32_e32 v144, 1
	s_xor_b32 s25, exec_lo, -1
.LBB0_195:                              ;   in Loop: Header=BB0_190 Depth=3
	s_or_b32 exec_lo, exec_lo, s24
	s_delay_alu instid0(SALU_CYCLE_1)
	s_or_not1_b32 s24, s25, exec_lo
.LBB0_196:                              ;   in Loop: Header=BB0_190 Depth=3
	s_or_b32 exec_lo, exec_lo, s23
	s_delay_alu instid0(SALU_CYCLE_1)
	s_or_b32 s22, s22, exec_lo
	s_and_saveexec_b32 s23, s24
	s_cbranch_execz .LBB0_189
; %bb.197:                              ;   in Loop: Header=BB0_190 Depth=3
	v_cmp_eq_u32_e32 vcc_lo, v54, v19
	v_cmp_eq_u32_e64 s8, v54, v21
	s_and_not1_b32 s22, s22, exec_lo
	s_delay_alu instid0(VALU_DEP_1) | instskip(NEXT) | instid1(SALU_CYCLE_1)
	s_and_b32 s8, vcc_lo, s8
	s_or_not1_b32 s8, s8, exec_lo
	s_branch .LBB0_189
.LBB0_198:                              ;   in Loop: Header=BB0_182 Depth=2
	s_or_b32 exec_lo, exec_lo, s20
	v_lshrrev_b32_e32 v103, 16, v18
	s_xor_b32 s8, s21, -1
	s_delay_alu instid0(SALU_CYCLE_1) | instskip(NEXT) | instid1(SALU_CYCLE_1)
	s_and_saveexec_b32 s20, s8
	s_xor_b32 s8, exec_lo, s20
	s_delay_alu instid0(SALU_CYCLE_1) | instskip(NEXT) | instid1(SALU_CYCLE_1)
	s_and_not1_saveexec_b32 s8, s8
	s_or_b32 exec_lo, exec_lo, s8
.LBB0_199:                              ;   in Loop: Header=BB0_182 Depth=2
	s_delay_alu instid0(SALU_CYCLE_1)
	s_or_b32 exec_lo, exec_lo, s9
.LBB0_200:                              ;   in Loop: Header=BB0_182 Depth=2
	s_delay_alu instid0(SALU_CYCLE_1) | instskip(SKIP_4) | instid1(VALU_DEP_3)
	s_or_b32 exec_lo, exec_lo, s19
	v_lshlrev_b32_e32 v19, 3, v116
	v_cmp_lt_u32_e32 vcc_lo, 3, v145
	v_lshrrev_b32_e32 v113, 16, v20
	s_waitcnt vmcnt(0) lgkmcnt(0)
	v_alignbit_b32 v21, v148, v146, v19
	v_alignbit_b32 v19, v147, v148, v19
	s_and_b32 s8, s7, vcc_lo
	s_delay_alu instid0(SALU_CYCLE_1) | instskip(NEXT) | instid1(VALU_DEP_3)
	v_cndmask_b32_e64 v112, 0, 1, s8
	v_lshrrev_b32_e32 v146, 16, v21
	s_delay_alu instid0(VALU_DEP_3) | instskip(SKIP_1) | instid1(VALU_DEP_3)
	v_lshrrev_b32_e32 v147, 16, v19
	;;#ASMSTART
	;;#ASMEND
	v_cmp_ne_u32_e64 s8, 0, v112
	v_mul_f16_e32 v18, v21, v18
	v_mul_f16_e32 v19, v19, v20
	v_mul_f16_e64 v20, v146, v103
	v_mul_f16_e64 v21, v147, v113
	s_cmp_lg_u32 s8, exec_lo
	s_mov_b32 s8, -1
	s_cbranch_scc0 .LBB0_208
; %bb.201:                              ;   in Loop: Header=BB0_182 Depth=2
	s_mov_b32 s9, exec_lo
	flat_store_b16 v[100:101], v18
	v_cmpx_ne_u32_e32 1, v145
	s_cbranch_execz .LBB0_203
; %bb.202:                              ;   in Loop: Header=BB0_182 Depth=2
	flat_store_b16 v[100:101], v20 offset:2
.LBB0_203:                              ;   in Loop: Header=BB0_182 Depth=2
	s_or_b32 exec_lo, exec_lo, s9
	s_delay_alu instid0(SALU_CYCLE_1)
	s_mov_b32 s9, exec_lo
	v_cmpx_lt_u32_e32 2, v145
	s_cbranch_execz .LBB0_205
; %bb.204:                              ;   in Loop: Header=BB0_182 Depth=2
	flat_store_b16 v[100:101], v19 offset:4
.LBB0_205:                              ;   in Loop: Header=BB0_182 Depth=2
	s_or_b32 exec_lo, exec_lo, s9
	s_and_saveexec_b32 s8, vcc_lo
	s_cbranch_execz .LBB0_207
; %bb.206:                              ;   in Loop: Header=BB0_182 Depth=2
	flat_store_b16 v[100:101], v21 offset:6
.LBB0_207:                              ;   in Loop: Header=BB0_182 Depth=2
	s_or_b32 exec_lo, exec_lo, s8
	s_mov_b32 s8, 0
.LBB0_208:                              ;   in Loop: Header=BB0_182 Depth=2
	s_delay_alu instid0(SALU_CYCLE_1)
	s_and_b32 vcc_lo, exec_lo, s8
	s_cbranch_vccz .LBB0_181
; %bb.209:                              ;   in Loop: Header=BB0_182 Depth=2
	v_lshlrev_b32_e32 v20, 16, v20
	v_lshlrev_b32_e32 v21, 16, v21
	v_and_b32_e32 v19, 0xffff, v19
	v_and_b32_e32 v18, 0xffff, v18
	s_delay_alu instid0(VALU_DEP_2) | instskip(NEXT) | instid1(VALU_DEP_2)
	v_or3_b32 v19, v21, v19, 0
	v_or_b32_e32 v18, v18, v20
	global_store_b64 v[100:101], v[18:19], off
	s_branch .LBB0_181
.LBB0_210:                              ;   in Loop: Header=BB0_32 Depth=1
	s_or_b32 exec_lo, exec_lo, s18
.LBB0_211:                              ;   in Loop: Header=BB0_32 Depth=1
	s_delay_alu instid0(SALU_CYCLE_1)
	s_or_b32 exec_lo, exec_lo, s10
	s_and_saveexec_b32 s8, s3
	s_cbranch_execz .LBB0_233
; %bb.212:                              ;   in Loop: Header=BB0_32 Depth=1
	s_and_saveexec_b32 s9, s4
	s_delay_alu instid0(SALU_CYCLE_1)
	s_xor_b32 s9, exec_lo, s9
	s_cbranch_execz .LBB0_230
; %bb.213:                              ;   in Loop: Header=BB0_32 Depth=1
	s_and_saveexec_b32 s10, s5
	s_cbranch_execz .LBB0_229
; %bb.214:                              ;   in Loop: Header=BB0_32 Depth=1
	s_mov_b32 s19, exec_lo
	s_mov_b32 s18, exec_lo
	v_mbcnt_lo_u32_b32 v18, s19, 0
	s_waitcnt vmcnt(0) lgkmcnt(0)
	s_waitcnt_vscnt null, 0x0
	buffer_gl1_inv
	buffer_gl0_inv
	v_cmpx_eq_u32_e32 0, v18
	s_cbranch_execz .LBB0_216
; %bb.215:                              ;   in Loop: Header=BB0_32 Depth=1
	s_bcnt1_i32_b32 s19, s19
	s_delay_alu instid0(SALU_CYCLE_1)
	v_mov_b32_e32 v54, s19
	ds_add_u64 v0, v[54:55]
	s_cbranch_execnz .LBB0_302
.LBB0_216:                              ;   in Loop: Header=BB0_32 Depth=1
	s_or_b32 exec_lo, exec_lo, s18
	s_cbranch_execnz .LBB0_290
; %bb.217:                              ;   in Loop: Header=BB0_32 Depth=1
	ds_load_b64 v[18:19], v0
	v_add_co_u32 v2, vcc_lo, v2, v118
	v_add_co_ci_u32_e32 v3, vcc_lo, v3, v69, vcc_lo
	s_mov_b32 s18, exec_lo
	s_waitcnt lgkmcnt(0)
	s_delay_alu instid0(VALU_DEP_1)
	v_cmpx_lt_u64_e64 v[18:19], v[2:3]
	s_cbranch_execz .LBB0_228
; %bb.218:                              ;   in Loop: Header=BB0_32 Depth=1
	s_mov_b32 s19, 0
	s_mov_b32 s22, 0
                                        ; implicit-def: $sgpr20
                                        ; implicit-def: $sgpr21
	s_branch .LBB0_220
.LBB0_219:                              ;   in Loop: Header=BB0_220 Depth=2
	s_or_b32 exec_lo, exec_lo, s25
	s_delay_alu instid0(SALU_CYCLE_1) | instskip(NEXT) | instid1(SALU_CYCLE_1)
	s_and_b32 s23, exec_lo, s24
	s_or_b32 s19, s23, s19
	s_and_not1_b32 s20, s20, exec_lo
	s_and_b32 s23, s21, exec_lo
	s_delay_alu instid0(SALU_CYCLE_1)
	s_or_b32 s20, s20, s23
	s_and_not1_b32 exec_lo, exec_lo, s19
	s_cbranch_execz .LBB0_226
.LBB0_220:                              ;   Parent Loop BB0_32 Depth=1
                                        ; =>  This Inner Loop Header: Depth=2
	s_add_i32 s22, s22, 1
                                        ; implicit-def: $sgpr24
	s_delay_alu instid0(SALU_CYCLE_1) | instskip(SKIP_1) | instid1(SALU_CYCLE_1)
	s_cmpk_lg_i32 s22, 0x2710
	s_cselect_b32 s23, -1, 0
	s_and_b32 vcc_lo, exec_lo, s23
	s_cbranch_vccz .LBB0_224
.LBB0_221:                              ;   in Loop: Header=BB0_220 Depth=2
	s_and_not1_b32 s21, s21, exec_lo
	s_and_b32 s25, s24, exec_lo
	s_mov_b32 s24, -1
	s_or_b32 s21, s21, s25
	s_and_saveexec_b32 s25, s23
	s_cbranch_execz .LBB0_219
; %bb.222:                              ;   in Loop: Header=BB0_220 Depth=2
	s_sleep 1
	s_cbranch_execnz .LBB0_310
; %bb.223:                              ;   in Loop: Header=BB0_220 Depth=2
	ds_load_b64 v[18:19], v0
	s_and_not1_b32 s21, s21, exec_lo
	s_waitcnt lgkmcnt(0)
	v_cmp_ge_u64_e32 vcc_lo, v[18:19], v[2:3]
	s_or_not1_b32 s24, vcc_lo, exec_lo
	s_branch .LBB0_219
.LBB0_224:                              ;   in Loop: Header=BB0_220 Depth=2
	s_cbranch_execnz .LBB0_312
; %bb.225:                              ;   in Loop: Header=BB0_220 Depth=2
	ds_load_b64 v[18:19], v0
	s_and_not1_b32 s23, s23, exec_lo
	s_mov_b32 s22, 0
	s_mov_b32 s24, -1
	s_waitcnt lgkmcnt(0)
	flat_load_b32 v18, v[18:19] glc
	s_waitcnt vmcnt(0) lgkmcnt(0)
	buffer_gl1_inv
	buffer_gl0_inv
	v_cmp_eq_u32_e32 vcc_lo, 0, v18
	s_and_b32 s25, vcc_lo, exec_lo
	s_delay_alu instid0(SALU_CYCLE_1)
	s_or_b32 s23, s23, s25
	s_branch .LBB0_221
.LBB0_226:                              ;   in Loop: Header=BB0_32 Depth=1
	s_or_b32 exec_lo, exec_lo, s19
	s_and_saveexec_b32 s19, s20
	s_delay_alu instid0(SALU_CYCLE_1)
	s_xor_b32 s19, exec_lo, s19
	s_cbranch_execz .LBB0_228
; %bb.227:                              ;   in Loop: Header=BB0_32 Depth=1
	ds_store_b32 v0, v135
	s_cbranch_execnz .LBB0_329
.LBB0_228:                              ;   in Loop: Header=BB0_32 Depth=1
	s_or_b32 exec_lo, exec_lo, s18
	;;#ASMSTART
	s_wakeup
	;;#ASMEND
.LBB0_229:                              ;   in Loop: Header=BB0_32 Depth=1
	s_or_b32 exec_lo, exec_lo, s10
.LBB0_230:                              ;   in Loop: Header=BB0_32 Depth=1
	s_and_not1_saveexec_b32 s9, s9
	s_cbranch_execz .LBB0_232
; %bb.231:                              ;   in Loop: Header=BB0_32 Depth=1
	s_waitcnt vmcnt(0) lgkmcnt(0)
	s_waitcnt_vscnt null, 0x0
	buffer_gl1_inv
	buffer_gl0_inv
	s_barrier
.LBB0_232:                              ;   in Loop: Header=BB0_32 Depth=1
	s_or_b32 exec_lo, exec_lo, s9
.LBB0_233:                              ;   in Loop: Header=BB0_32 Depth=1
	s_delay_alu instid0(SALU_CYCLE_1)
	s_or_b32 exec_lo, exec_lo, s8
	s_and_saveexec_b32 s8, s6
	s_cbranch_execz .LBB0_235
; %bb.234:                              ;   in Loop: Header=BB0_32 Depth=1
	v_add_co_u32 v48, vcc_lo, v48, 1
	v_add_co_ci_u32_e32 v49, vcc_lo, 0, v49, vcc_lo
	s_waitcnt vmcnt(0) lgkmcnt(0)
	s_waitcnt_vscnt null, 0x0
	flat_store_b64 v[36:37], v[48:49]
.LBB0_235:                              ;   in Loop: Header=BB0_32 Depth=1
	s_or_b32 exec_lo, exec_lo, s8
	v_add_co_u32 v86, vcc_lo, v86, v64
	v_add_co_ci_u32_e32 v87, vcc_lo, 0, v87, vcc_lo
	v_add_co_u32 v32, vcc_lo, v32, 1
	v_add_co_ci_u32_e32 v33, vcc_lo, 0, v33, vcc_lo
	s_delay_alu instid0(VALU_DEP_3) | instskip(SKIP_1) | instid1(VALU_DEP_1)
	v_cmp_ge_u64_e32 vcc_lo, v[86:87], v[8:9]
	v_add_co_u32 v10, s8, v10, v131
	v_add_co_ci_u32_e64 v11, s8, 0, v11, s8
	v_add_nc_u32_e32 v0, v0, v5
	s_or_b32 s16, vcc_lo, s16
	s_delay_alu instid0(SALU_CYCLE_1)
	s_and_not1_b32 exec_lo, exec_lo, s16
	s_cbranch_execnz .LBB0_32
; %bb.236:
	s_or_b32 exec_lo, exec_lo, s16
.LBB0_237:
	s_delay_alu instid0(SALU_CYCLE_1)
	s_or_b32 exec_lo, exec_lo, s12
	s_and_saveexec_b32 s1, s11
	s_cbranch_execz .LBB0_239
; %bb.238:
	s_waitcnt lgkmcnt(0)
	flat_store_b64 v[26:27], v[48:49] offset:104
.LBB0_239:
	s_or_b32 exec_lo, exec_lo, s1
	s_and_saveexec_b32 s1, s0
	s_cbranch_execz .LBB0_241
; %bb.240:
	s_waitcnt lgkmcnt(0)
	flat_store_b64 v[34:35], v[16:17] offset:104
.LBB0_241:
	s_or_b32 exec_lo, exec_lo, s1
	s_delay_alu instid0(SALU_CYCLE_1)
	s_mov_b32 s0, exec_lo
	v_cmpx_ne_u32_e32 32, v1
	s_cbranch_execz .LBB0_320
; %bb.242:
	s_mov_b32 s1, exec_lo
	v_cmpx_ne_u32_e64 v30, v1
	s_xor_b32 s1, exec_lo, s1
	s_cbranch_execz .LBB0_318
; %bb.243:
	v_and_b32_e32 v0, 31, v31
	s_mov_b32 s2, exec_lo
	s_delay_alu instid0(VALU_DEP_1)
	v_cmpx_eq_u32_e32 0, v0
	s_cbranch_execz .LBB0_317
; %bb.244:
	s_mov_b32 s4, exec_lo
	s_mov_b32 s3, exec_lo
	v_mbcnt_lo_u32_b32 v0, s4, 0
	s_waitcnt vmcnt(0) lgkmcnt(0)
	s_waitcnt_vscnt null, 0x0
	buffer_gl1_inv
	buffer_gl0_inv
	v_cmpx_eq_u32_e32 0, v0
	s_cbranch_execz .LBB0_246
; %bb.245:
	s_bcnt1_i32_b32 s4, s4
	s_delay_alu instid0(SALU_CYCLE_1)
	v_dual_mov_b32 v5, 0 :: v_dual_mov_b32 v4, s4
	ds_add_u64 v0, v[4:5]
	s_cbranch_execnz .LBB0_278
.LBB0_246:
	s_or_b32 exec_lo, exec_lo, s3
	s_cbranch_execnz .LBB0_263
; %bb.247:
	v_ashrrev_i32_e32 v0, 31, v1
	s_mov_b32 s3, exec_lo
	s_delay_alu instid0(VALU_DEP_1) | instskip(NEXT) | instid1(VALU_DEP_1)
	v_lshrrev_b32_e32 v0, 27, v0
	v_add_nc_u32_e32 v0, v1, v0
	ds_load_b64 v[4:5], v0
	v_ashrrev_i32_e32 v0, 5, v0
	s_delay_alu instid0(VALU_DEP_1) | instskip(SKIP_1) | instid1(VALU_DEP_2)
	v_ashrrev_i32_e32 v1, 31, v0
	v_add_co_u32 v0, vcc_lo, v2, v0
	v_add_co_ci_u32_e32 v1, vcc_lo, v3, v1, vcc_lo
	s_waitcnt lgkmcnt(0)
	s_delay_alu instid0(VALU_DEP_1)
	v_cmpx_lt_u64_e64 v[4:5], v[0:1]
	s_cbranch_execz .LBB0_316
; %bb.248:
	s_mov_b32 s4, 0
	s_mov_b32 s7, 0
                                        ; implicit-def: $sgpr5
                                        ; implicit-def: $sgpr6
	s_branch .LBB0_268
.LBB0_249:
	s_trap 2
	s_sendmsg_rtn_b32 s0, sendmsg(MSG_RTN_GET_DOORBELL)
	s_mov_b32 ttmp2, m0
	s_waitcnt lgkmcnt(0)
	s_and_b32 s0, s0, 0x3ff
	s_delay_alu instid0(SALU_CYCLE_1) | instskip(NEXT) | instid1(SALU_CYCLE_1)
	s_bitset1_b32 s0, 10
	s_mov_b32 m0, s0
	s_sendmsg sendmsg(MSG_INTERRUPT)
	s_mov_b32 m0, ttmp2
.LBB0_250:                              ; =>This Inner Loop Header: Depth=1
	s_sethalt 5
	s_branch .LBB0_250
.LBB0_251:
	s_trap 2
	s_sendmsg_rtn_b32 s0, sendmsg(MSG_RTN_GET_DOORBELL)
	s_mov_b32 ttmp2, m0
	s_waitcnt lgkmcnt(0)
	s_and_b32 s0, s0, 0x3ff
	s_delay_alu instid0(SALU_CYCLE_1) | instskip(NEXT) | instid1(SALU_CYCLE_1)
	s_bitset1_b32 s0, 10
	s_mov_b32 m0, s0
	s_sendmsg sendmsg(MSG_INTERRUPT)
	s_mov_b32 m0, ttmp2
.LBB0_252:                              ; =>This Inner Loop Header: Depth=1
	s_sethalt 5
	s_branch .LBB0_252
.LBB0_253:
	s_trap 2
	s_sendmsg_rtn_b32 s0, sendmsg(MSG_RTN_GET_DOORBELL)
	s_mov_b32 ttmp2, m0
	s_waitcnt lgkmcnt(0)
	s_and_b32 s0, s0, 0x3ff
	s_delay_alu instid0(SALU_CYCLE_1) | instskip(NEXT) | instid1(SALU_CYCLE_1)
	s_bitset1_b32 s0, 10
	s_mov_b32 m0, s0
	s_sendmsg sendmsg(MSG_INTERRUPT)
	s_mov_b32 m0, ttmp2
.LBB0_254:                              ; =>This Inner Loop Header: Depth=1
	s_sethalt 5
	s_branch .LBB0_254
.LBB0_255:
	s_trap 2
	s_sendmsg_rtn_b32 s0, sendmsg(MSG_RTN_GET_DOORBELL)
	s_mov_b32 ttmp2, m0
	s_waitcnt lgkmcnt(0)
	s_and_b32 s0, s0, 0x3ff
	s_delay_alu instid0(SALU_CYCLE_1) | instskip(NEXT) | instid1(SALU_CYCLE_1)
	s_bitset1_b32 s0, 10
	s_mov_b32 m0, s0
	s_sendmsg sendmsg(MSG_INTERRUPT)
	s_mov_b32 m0, ttmp2
.LBB0_256:                              ; =>This Inner Loop Header: Depth=1
	s_sethalt 5
	s_branch .LBB0_256
.LBB0_257:
	s_trap 2
	s_sendmsg_rtn_b32 s0, sendmsg(MSG_RTN_GET_DOORBELL)
	s_mov_b32 ttmp2, m0
	s_waitcnt lgkmcnt(0)
	s_and_b32 s0, s0, 0x3ff
	s_delay_alu instid0(SALU_CYCLE_1) | instskip(NEXT) | instid1(SALU_CYCLE_1)
	s_bitset1_b32 s0, 10
	s_mov_b32 m0, s0
	s_sendmsg sendmsg(MSG_INTERRUPT)
	s_mov_b32 m0, ttmp2
.LBB0_258:                              ; =>This Inner Loop Header: Depth=1
	s_sethalt 5
	s_branch .LBB0_258
.LBB0_259:
	s_trap 2
	s_sendmsg_rtn_b32 s0, sendmsg(MSG_RTN_GET_DOORBELL)
	s_mov_b32 ttmp2, m0
	s_waitcnt lgkmcnt(0)
	s_and_b32 s0, s0, 0x3ff
	s_delay_alu instid0(SALU_CYCLE_1) | instskip(NEXT) | instid1(SALU_CYCLE_1)
	s_bitset1_b32 s0, 10
	s_mov_b32 m0, s0
	s_sendmsg sendmsg(MSG_INTERRUPT)
	s_mov_b32 m0, ttmp2
.LBB0_260:                              ; =>This Inner Loop Header: Depth=1
	s_sethalt 5
	s_branch .LBB0_260
.LBB0_261:
	s_trap 2
	s_sendmsg_rtn_b32 s0, sendmsg(MSG_RTN_GET_DOORBELL)
	s_mov_b32 ttmp2, m0
	s_waitcnt lgkmcnt(0)
	s_and_b32 s0, s0, 0x3ff
	s_delay_alu instid0(SALU_CYCLE_1) | instskip(NEXT) | instid1(SALU_CYCLE_1)
	s_bitset1_b32 s0, 10
	s_mov_b32 m0, s0
	s_sendmsg sendmsg(MSG_INTERRUPT)
	s_mov_b32 m0, ttmp2
.LBB0_262:                              ; =>This Inner Loop Header: Depth=1
	s_sethalt 5
	s_branch .LBB0_262
.LBB0_263:
	s_trap 2
	s_sendmsg_rtn_b32 s0, sendmsg(MSG_RTN_GET_DOORBELL)
	s_mov_b32 ttmp2, m0
	s_waitcnt lgkmcnt(0)
	s_and_b32 s0, s0, 0x3ff
	s_delay_alu instid0(SALU_CYCLE_1) | instskip(NEXT) | instid1(SALU_CYCLE_1)
	s_bitset1_b32 s0, 10
	s_mov_b32 m0, s0
	s_sendmsg sendmsg(MSG_INTERRUPT)
	s_mov_b32 m0, ttmp2
.LBB0_264:                              ; =>This Inner Loop Header: Depth=1
	s_sethalt 5
	s_branch .LBB0_264
.LBB0_265:
	s_trap 2
	s_sendmsg_rtn_b32 s0, sendmsg(MSG_RTN_GET_DOORBELL)
	s_mov_b32 ttmp2, m0
	s_waitcnt lgkmcnt(0)
	s_and_b32 s0, s0, 0x3ff
	s_delay_alu instid0(SALU_CYCLE_1) | instskip(NEXT) | instid1(SALU_CYCLE_1)
	s_bitset1_b32 s0, 10
	s_mov_b32 m0, s0
	s_sendmsg sendmsg(MSG_INTERRUPT)
	s_mov_b32 m0, ttmp2
.LBB0_266:                              ; =>This Inner Loop Header: Depth=1
	s_sethalt 5
	s_branch .LBB0_266
.LBB0_267:                              ;   in Loop: Header=BB0_268 Depth=1
	s_or_b32 exec_lo, exec_lo, s10
	s_delay_alu instid0(SALU_CYCLE_1) | instskip(NEXT) | instid1(SALU_CYCLE_1)
	s_and_b32 s8, exec_lo, s9
	s_or_b32 s4, s8, s4
	s_and_not1_b32 s5, s5, exec_lo
	s_and_b32 s8, s6, exec_lo
	s_delay_alu instid0(SALU_CYCLE_1)
	s_or_b32 s5, s5, s8
	s_and_not1_b32 exec_lo, exec_lo, s4
	s_cbranch_execz .LBB0_314
.LBB0_268:                              ; =>This Inner Loop Header: Depth=1
	s_add_i32 s7, s7, 1
                                        ; implicit-def: $sgpr9
	s_delay_alu instid0(SALU_CYCLE_1) | instskip(SKIP_1) | instid1(SALU_CYCLE_1)
	s_cmpk_lg_i32 s7, 0x2710
	s_cselect_b32 s8, -1, 0
	s_and_b32 vcc_lo, exec_lo, s8
	s_cbranch_vccz .LBB0_272
.LBB0_269:                              ;   in Loop: Header=BB0_268 Depth=1
	s_and_not1_b32 s6, s6, exec_lo
	s_and_b32 s10, s9, exec_lo
	s_mov_b32 s9, -1
	s_or_b32 s6, s6, s10
	s_and_saveexec_b32 s10, s8
	s_cbranch_execz .LBB0_267
; %bb.270:                              ;   in Loop: Header=BB0_268 Depth=1
	s_sleep 1
	s_cbranch_execnz .LBB0_292
; %bb.271:                              ;   in Loop: Header=BB0_268 Depth=1
	ds_load_b64 v[2:3], v0
	s_and_not1_b32 s6, s6, exec_lo
	s_waitcnt lgkmcnt(0)
	v_cmp_ge_u64_e32 vcc_lo, v[2:3], v[0:1]
	s_or_not1_b32 s9, vcc_lo, exec_lo
	s_branch .LBB0_267
.LBB0_272:                              ;   in Loop: Header=BB0_268 Depth=1
	s_cbranch_execnz .LBB0_298
; %bb.273:                              ;   in Loop: Header=BB0_268 Depth=1
	ds_load_b64 v[2:3], v0
	s_and_not1_b32 s8, s8, exec_lo
	s_mov_b32 s7, 0
	s_mov_b32 s9, -1
	s_waitcnt lgkmcnt(0)
	flat_load_b32 v2, v[2:3] glc
	s_waitcnt vmcnt(0) lgkmcnt(0)
	buffer_gl1_inv
	buffer_gl0_inv
	v_cmp_eq_u32_e32 vcc_lo, 0, v2
	s_and_b32 s10, vcc_lo, exec_lo
	s_delay_alu instid0(SALU_CYCLE_1)
	s_or_b32 s8, s8, s10
	s_branch .LBB0_269
.LBB0_274:
	s_trap 2
	s_sendmsg_rtn_b32 s0, sendmsg(MSG_RTN_GET_DOORBELL)
	s_mov_b32 ttmp2, m0
	s_waitcnt lgkmcnt(0)
	s_and_b32 s0, s0, 0x3ff
	s_delay_alu instid0(SALU_CYCLE_1) | instskip(NEXT) | instid1(SALU_CYCLE_1)
	s_bitset1_b32 s0, 10
	s_mov_b32 m0, s0
	s_sendmsg sendmsg(MSG_INTERRUPT)
	s_mov_b32 m0, ttmp2
.LBB0_275:                              ; =>This Inner Loop Header: Depth=1
	s_sethalt 5
	s_branch .LBB0_275
.LBB0_276:
	s_trap 2
	s_sendmsg_rtn_b32 s0, sendmsg(MSG_RTN_GET_DOORBELL)
	s_mov_b32 ttmp2, m0
	s_waitcnt lgkmcnt(0)
	s_and_b32 s0, s0, 0x3ff
	s_delay_alu instid0(SALU_CYCLE_1) | instskip(NEXT) | instid1(SALU_CYCLE_1)
	s_bitset1_b32 s0, 10
	s_mov_b32 m0, s0
	s_sendmsg sendmsg(MSG_INTERRUPT)
	s_mov_b32 m0, ttmp2
.LBB0_277:                              ; =>This Inner Loop Header: Depth=1
	s_sethalt 5
	s_branch .LBB0_277
.LBB0_278:
	s_trap 2
	s_sendmsg_rtn_b32 s0, sendmsg(MSG_RTN_GET_DOORBELL)
	s_mov_b32 ttmp2, m0
	s_waitcnt lgkmcnt(0)
	s_and_b32 s0, s0, 0x3ff
	s_delay_alu instid0(SALU_CYCLE_1) | instskip(NEXT) | instid1(SALU_CYCLE_1)
	s_bitset1_b32 s0, 10
	s_mov_b32 m0, s0
	s_sendmsg sendmsg(MSG_INTERRUPT)
	s_mov_b32 m0, ttmp2
.LBB0_279:                              ; =>This Inner Loop Header: Depth=1
	s_sethalt 5
	s_branch .LBB0_279
.LBB0_280:
	s_trap 2
	s_sendmsg_rtn_b32 s0, sendmsg(MSG_RTN_GET_DOORBELL)
	s_mov_b32 ttmp2, m0
	s_waitcnt lgkmcnt(0)
	s_and_b32 s0, s0, 0x3ff
	s_delay_alu instid0(SALU_CYCLE_1) | instskip(NEXT) | instid1(SALU_CYCLE_1)
	s_bitset1_b32 s0, 10
	s_mov_b32 m0, s0
	s_sendmsg sendmsg(MSG_INTERRUPT)
	s_mov_b32 m0, ttmp2
.LBB0_281:                              ; =>This Inner Loop Header: Depth=1
	s_sethalt 5
	s_branch .LBB0_281
.LBB0_282:
	s_trap 2
	s_sendmsg_rtn_b32 s0, sendmsg(MSG_RTN_GET_DOORBELL)
	s_mov_b32 ttmp2, m0
	s_waitcnt lgkmcnt(0)
	s_and_b32 s0, s0, 0x3ff
	s_delay_alu instid0(SALU_CYCLE_1) | instskip(NEXT) | instid1(SALU_CYCLE_1)
	s_bitset1_b32 s0, 10
	s_mov_b32 m0, s0
	s_sendmsg sendmsg(MSG_INTERRUPT)
	s_mov_b32 m0, ttmp2
.LBB0_283:                              ; =>This Inner Loop Header: Depth=1
	s_sethalt 5
	s_branch .LBB0_283
.LBB0_284:
	s_trap 2
	s_sendmsg_rtn_b32 s0, sendmsg(MSG_RTN_GET_DOORBELL)
	s_mov_b32 ttmp2, m0
	s_waitcnt lgkmcnt(0)
	s_and_b32 s0, s0, 0x3ff
	s_delay_alu instid0(SALU_CYCLE_1) | instskip(NEXT) | instid1(SALU_CYCLE_1)
	s_bitset1_b32 s0, 10
	s_mov_b32 m0, s0
	s_sendmsg sendmsg(MSG_INTERRUPT)
	s_mov_b32 m0, ttmp2
.LBB0_285:                              ; =>This Inner Loop Header: Depth=1
	s_sethalt 5
	s_branch .LBB0_285
.LBB0_286:
	s_trap 2
	s_sendmsg_rtn_b32 s0, sendmsg(MSG_RTN_GET_DOORBELL)
	s_mov_b32 ttmp2, m0
	s_waitcnt lgkmcnt(0)
	s_and_b32 s0, s0, 0x3ff
	s_delay_alu instid0(SALU_CYCLE_1) | instskip(NEXT) | instid1(SALU_CYCLE_1)
	s_bitset1_b32 s0, 10
	s_mov_b32 m0, s0
	s_sendmsg sendmsg(MSG_INTERRUPT)
	s_mov_b32 m0, ttmp2
.LBB0_287:                              ; =>This Inner Loop Header: Depth=1
	s_sethalt 5
	s_branch .LBB0_287
.LBB0_288:
	s_trap 2
	s_sendmsg_rtn_b32 s0, sendmsg(MSG_RTN_GET_DOORBELL)
	s_mov_b32 ttmp2, m0
	s_waitcnt lgkmcnt(0)
	s_and_b32 s0, s0, 0x3ff
	s_delay_alu instid0(SALU_CYCLE_1) | instskip(NEXT) | instid1(SALU_CYCLE_1)
	s_bitset1_b32 s0, 10
	s_mov_b32 m0, s0
	s_sendmsg sendmsg(MSG_INTERRUPT)
	s_mov_b32 m0, ttmp2
.LBB0_289:                              ; =>This Inner Loop Header: Depth=1
	s_sethalt 5
	s_branch .LBB0_289
.LBB0_290:
	s_trap 2
	s_sendmsg_rtn_b32 s0, sendmsg(MSG_RTN_GET_DOORBELL)
	s_mov_b32 ttmp2, m0
	s_waitcnt lgkmcnt(0)
	s_and_b32 s0, s0, 0x3ff
	s_delay_alu instid0(SALU_CYCLE_1) | instskip(NEXT) | instid1(SALU_CYCLE_1)
	s_bitset1_b32 s0, 10
	s_mov_b32 m0, s0
	s_sendmsg sendmsg(MSG_INTERRUPT)
	s_mov_b32 m0, ttmp2
.LBB0_291:                              ; =>This Inner Loop Header: Depth=1
	s_sethalt 5
	s_branch .LBB0_291
.LBB0_292:
	s_trap 2
	s_sendmsg_rtn_b32 s0, sendmsg(MSG_RTN_GET_DOORBELL)
	s_mov_b32 ttmp2, m0
	s_waitcnt lgkmcnt(0)
	s_and_b32 s0, s0, 0x3ff
	s_delay_alu instid0(SALU_CYCLE_1) | instskip(NEXT) | instid1(SALU_CYCLE_1)
	s_bitset1_b32 s0, 10
	s_mov_b32 m0, s0
	s_sendmsg sendmsg(MSG_INTERRUPT)
	s_mov_b32 m0, ttmp2
.LBB0_293:                              ; =>This Inner Loop Header: Depth=1
	s_sethalt 5
	s_branch .LBB0_293
.LBB0_294:
	s_trap 2
	s_sendmsg_rtn_b32 s0, sendmsg(MSG_RTN_GET_DOORBELL)
	s_mov_b32 ttmp2, m0
	s_waitcnt lgkmcnt(0)
	s_and_b32 s0, s0, 0x3ff
	s_delay_alu instid0(SALU_CYCLE_1) | instskip(NEXT) | instid1(SALU_CYCLE_1)
	s_bitset1_b32 s0, 10
	s_mov_b32 m0, s0
	s_sendmsg sendmsg(MSG_INTERRUPT)
	s_mov_b32 m0, ttmp2
.LBB0_295:                              ; =>This Inner Loop Header: Depth=1
	s_sethalt 5
	s_branch .LBB0_295
.LBB0_296:
	s_trap 2
	s_sendmsg_rtn_b32 s0, sendmsg(MSG_RTN_GET_DOORBELL)
	s_mov_b32 ttmp2, m0
	s_waitcnt lgkmcnt(0)
	s_and_b32 s0, s0, 0x3ff
	s_delay_alu instid0(SALU_CYCLE_1) | instskip(NEXT) | instid1(SALU_CYCLE_1)
	s_bitset1_b32 s0, 10
	s_mov_b32 m0, s0
	s_sendmsg sendmsg(MSG_INTERRUPT)
	s_mov_b32 m0, ttmp2
.LBB0_297:                              ; =>This Inner Loop Header: Depth=1
	s_sethalt 5
	s_branch .LBB0_297
.LBB0_298:
	s_trap 2
	s_sendmsg_rtn_b32 s0, sendmsg(MSG_RTN_GET_DOORBELL)
	s_mov_b32 ttmp2, m0
	s_waitcnt lgkmcnt(0)
	s_and_b32 s0, s0, 0x3ff
	s_delay_alu instid0(SALU_CYCLE_1) | instskip(NEXT) | instid1(SALU_CYCLE_1)
	s_bitset1_b32 s0, 10
	s_mov_b32 m0, s0
	s_sendmsg sendmsg(MSG_INTERRUPT)
	s_mov_b32 m0, ttmp2
.LBB0_299:                              ; =>This Inner Loop Header: Depth=1
	s_sethalt 5
	s_branch .LBB0_299
.LBB0_300:
	s_trap 2
	s_sendmsg_rtn_b32 s0, sendmsg(MSG_RTN_GET_DOORBELL)
	s_mov_b32 ttmp2, m0
	s_waitcnt lgkmcnt(0)
	s_and_b32 s0, s0, 0x3ff
	s_delay_alu instid0(SALU_CYCLE_1) | instskip(NEXT) | instid1(SALU_CYCLE_1)
	s_bitset1_b32 s0, 10
	s_mov_b32 m0, s0
	s_sendmsg sendmsg(MSG_INTERRUPT)
	s_mov_b32 m0, ttmp2
.LBB0_301:                              ; =>This Inner Loop Header: Depth=1
	s_sethalt 5
	s_branch .LBB0_301
.LBB0_302:
	s_trap 2
	s_sendmsg_rtn_b32 s0, sendmsg(MSG_RTN_GET_DOORBELL)
	s_mov_b32 ttmp2, m0
	s_waitcnt lgkmcnt(0)
	s_and_b32 s0, s0, 0x3ff
	s_delay_alu instid0(SALU_CYCLE_1) | instskip(NEXT) | instid1(SALU_CYCLE_1)
	s_bitset1_b32 s0, 10
	s_mov_b32 m0, s0
	s_sendmsg sendmsg(MSG_INTERRUPT)
	s_mov_b32 m0, ttmp2
.LBB0_303:                              ; =>This Inner Loop Header: Depth=1
	s_sethalt 5
	s_branch .LBB0_303
.LBB0_304:
	s_trap 2
	s_sendmsg_rtn_b32 s0, sendmsg(MSG_RTN_GET_DOORBELL)
	s_mov_b32 ttmp2, m0
	s_waitcnt lgkmcnt(0)
	s_and_b32 s0, s0, 0x3ff
	s_delay_alu instid0(SALU_CYCLE_1) | instskip(NEXT) | instid1(SALU_CYCLE_1)
	s_bitset1_b32 s0, 10
	s_mov_b32 m0, s0
	s_sendmsg sendmsg(MSG_INTERRUPT)
	s_mov_b32 m0, ttmp2
.LBB0_305:                              ; =>This Inner Loop Header: Depth=1
	s_sethalt 5
	s_branch .LBB0_305
.LBB0_306:
	s_trap 2
	s_sendmsg_rtn_b32 s0, sendmsg(MSG_RTN_GET_DOORBELL)
	s_mov_b32 ttmp2, m0
	s_waitcnt lgkmcnt(0)
	s_and_b32 s0, s0, 0x3ff
	s_delay_alu instid0(SALU_CYCLE_1) | instskip(NEXT) | instid1(SALU_CYCLE_1)
	s_bitset1_b32 s0, 10
	s_mov_b32 m0, s0
	s_sendmsg sendmsg(MSG_INTERRUPT)
	s_mov_b32 m0, ttmp2
.LBB0_307:                              ; =>This Inner Loop Header: Depth=1
	s_sethalt 5
	s_branch .LBB0_307
.LBB0_308:
	s_trap 2
	s_sendmsg_rtn_b32 s0, sendmsg(MSG_RTN_GET_DOORBELL)
	s_mov_b32 ttmp2, m0
	s_waitcnt lgkmcnt(0)
	s_and_b32 s0, s0, 0x3ff
	s_delay_alu instid0(SALU_CYCLE_1) | instskip(NEXT) | instid1(SALU_CYCLE_1)
	s_bitset1_b32 s0, 10
	s_mov_b32 m0, s0
	s_sendmsg sendmsg(MSG_INTERRUPT)
	s_mov_b32 m0, ttmp2
.LBB0_309:                              ; =>This Inner Loop Header: Depth=1
	s_sethalt 5
	s_branch .LBB0_309
.LBB0_310:
	s_trap 2
	s_sendmsg_rtn_b32 s0, sendmsg(MSG_RTN_GET_DOORBELL)
	s_mov_b32 ttmp2, m0
	s_waitcnt lgkmcnt(0)
	s_and_b32 s0, s0, 0x3ff
	s_delay_alu instid0(SALU_CYCLE_1) | instskip(NEXT) | instid1(SALU_CYCLE_1)
	s_bitset1_b32 s0, 10
	s_mov_b32 m0, s0
	s_sendmsg sendmsg(MSG_INTERRUPT)
	s_mov_b32 m0, ttmp2
.LBB0_311:                              ; =>This Inner Loop Header: Depth=1
	s_sethalt 5
	s_branch .LBB0_311
.LBB0_312:
	s_trap 2
	s_sendmsg_rtn_b32 s0, sendmsg(MSG_RTN_GET_DOORBELL)
	s_mov_b32 ttmp2, m0
	s_waitcnt lgkmcnt(0)
	s_and_b32 s0, s0, 0x3ff
	s_delay_alu instid0(SALU_CYCLE_1) | instskip(NEXT) | instid1(SALU_CYCLE_1)
	s_bitset1_b32 s0, 10
	s_mov_b32 m0, s0
	s_sendmsg sendmsg(MSG_INTERRUPT)
	s_mov_b32 m0, ttmp2
.LBB0_313:                              ; =>This Inner Loop Header: Depth=1
	s_sethalt 5
	s_branch .LBB0_313
.LBB0_314:
	s_or_b32 exec_lo, exec_lo, s4
	s_and_saveexec_b32 s4, s5
	s_delay_alu instid0(SALU_CYCLE_1)
	s_xor_b32 s4, exec_lo, s4
	s_cbranch_execz .LBB0_316
; %bb.315:
	v_mov_b32_e32 v0, 1
	ds_store_b32 v0, v0
	s_cbranch_execnz .LBB0_323
.LBB0_316:
	s_or_b32 exec_lo, exec_lo, s3
	;;#ASMSTART
	s_wakeup
	;;#ASMEND
.LBB0_317:
	s_or_b32 exec_lo, exec_lo, s2
.LBB0_318:
	s_and_not1_saveexec_b32 s1, s1
	s_cbranch_execz .LBB0_320
; %bb.319:
	s_waitcnt vmcnt(0) lgkmcnt(0)
	s_waitcnt_vscnt null, 0x0
	buffer_gl1_inv
	buffer_gl0_inv
	s_barrier
.LBB0_320:
	s_or_b32 exec_lo, exec_lo, s0
	s_waitcnt vmcnt(0) lgkmcnt(0)
	s_setpc_b64 s[30:31]
.LBB0_321:
	s_trap 2
	s_sendmsg_rtn_b32 s0, sendmsg(MSG_RTN_GET_DOORBELL)
	s_mov_b32 ttmp2, m0
	s_waitcnt lgkmcnt(0)
	s_and_b32 s0, s0, 0x3ff
	s_delay_alu instid0(SALU_CYCLE_1) | instskip(NEXT) | instid1(SALU_CYCLE_1)
	s_bitset1_b32 s0, 10
	s_mov_b32 m0, s0
	s_sendmsg sendmsg(MSG_INTERRUPT)
	s_mov_b32 m0, ttmp2
.LBB0_322:                              ; =>This Inner Loop Header: Depth=1
	s_sethalt 5
	s_branch .LBB0_322
.LBB0_323:
	s_trap 2
	s_sendmsg_rtn_b32 s0, sendmsg(MSG_RTN_GET_DOORBELL)
	s_mov_b32 ttmp2, m0
	s_waitcnt lgkmcnt(0)
	s_and_b32 s0, s0, 0x3ff
	s_delay_alu instid0(SALU_CYCLE_1) | instskip(NEXT) | instid1(SALU_CYCLE_1)
	s_bitset1_b32 s0, 10
	s_mov_b32 m0, s0
	s_sendmsg sendmsg(MSG_INTERRUPT)
	s_mov_b32 m0, ttmp2
.LBB0_324:                              ; =>This Inner Loop Header: Depth=1
	s_sethalt 5
	s_branch .LBB0_324
.LBB0_325:
	s_trap 2
	s_sendmsg_rtn_b32 s0, sendmsg(MSG_RTN_GET_DOORBELL)
	s_mov_b32 ttmp2, m0
	s_waitcnt lgkmcnt(0)
	s_and_b32 s0, s0, 0x3ff
	s_delay_alu instid0(SALU_CYCLE_1) | instskip(NEXT) | instid1(SALU_CYCLE_1)
	s_bitset1_b32 s0, 10
	s_mov_b32 m0, s0
	s_sendmsg sendmsg(MSG_INTERRUPT)
	s_mov_b32 m0, ttmp2
.LBB0_326:                              ; =>This Inner Loop Header: Depth=1
	s_sethalt 5
	s_branch .LBB0_326
.LBB0_327:
	s_trap 2
	s_sendmsg_rtn_b32 s0, sendmsg(MSG_RTN_GET_DOORBELL)
	s_mov_b32 ttmp2, m0
	s_waitcnt lgkmcnt(0)
	s_and_b32 s0, s0, 0x3ff
	s_delay_alu instid0(SALU_CYCLE_1) | instskip(NEXT) | instid1(SALU_CYCLE_1)
	s_bitset1_b32 s0, 10
	s_mov_b32 m0, s0
	s_sendmsg sendmsg(MSG_INTERRUPT)
	s_mov_b32 m0, ttmp2
.LBB0_328:                              ; =>This Inner Loop Header: Depth=1
	s_sethalt 5
	s_branch .LBB0_328
.LBB0_329:
	s_trap 2
	s_sendmsg_rtn_b32 s0, sendmsg(MSG_RTN_GET_DOORBELL)
	s_mov_b32 ttmp2, m0
	s_waitcnt lgkmcnt(0)
	s_and_b32 s0, s0, 0x3ff
	s_delay_alu instid0(SALU_CYCLE_1) | instskip(NEXT) | instid1(SALU_CYCLE_1)
	s_bitset1_b32 s0, 10
	s_mov_b32 m0, s0
	s_sendmsg sendmsg(MSG_INTERRUPT)
	s_mov_b32 m0, ttmp2
.LBB0_330:                              ; =>This Inner Loop Header: Depth=1
	s_sethalt 5
	s_branch .LBB0_330
.Lfunc_end0:
	.size	_ZN12_GLOBAL__N_17runRingI6__half8FuncProdIS1_E7ProtoLLLi0ELi1ELi0EEEviiP15ncclDevWorkColl, .Lfunc_end0-_ZN12_GLOBAL__N_17runRingI6__half8FuncProdIS1_E7ProtoLLLi0ELi1ELi0EEEviiP15ncclDevWorkColl
                                        ; -- End function
	.section	.AMDGPU.csdata,"",@progbits
; Function info:
; codeLenInByte = 9992
; NumSgprs: 34
; NumVgprs: 178
; ScratchSize: 0
; MemoryBound: 0
	.text
	.p2align	2                               ; -- Begin function _Z48ncclDevFunc_ReduceScatter_RING_LL_Prod_f16_0_0_1v
	.type	_Z48ncclDevFunc_ReduceScatter_RING_LL_Prod_f16_0_0_1v,@function
_Z48ncclDevFunc_ReduceScatter_RING_LL_Prod_f16_0_0_1v: ; @_Z48ncclDevFunc_ReduceScatter_RING_LL_Prod_f16_0_0_1v
; %bb.0:
	s_waitcnt vmcnt(0) expcnt(0) lgkmcnt(0)
	s_mov_b32 s0, s33
	s_mov_b32 s33, s32
	s_or_saveexec_b32 s1, -1
	scratch_store_b32 off, v40, s33         ; 4-byte Folded Spill
	s_mov_b32 exec_lo, s1
	v_writelane_b32 v40, s0, 6
	s_add_i32 s32, s32, 16
	v_writelane_b32 v40, s34, 0
	v_writelane_b32 v40, s35, 1
	;; [unrolled: 1-line block ×6, first 2 shown]
	s_cbranch_execnz .LBB1_13
; %bb.1:
	ds_load_b32 v0, v0
	s_waitcnt lgkmcnt(0)
	v_cmp_gt_i32_e32 vcc_lo, 1, v0
	s_cbranch_vccnz .LBB1_12
; %bb.2:
	v_and_b32_e32 v178, 0x3ff, v31
	s_mov_b32 s36, 0
	s_mov_b64 s[34:35], src_shared_base
.LBB1_3:                                ; =>This Inner Loop Header: Depth=1
	s_cbranch_execnz .LBB1_15
; %bb.4:                                ;   in Loop: Header=BB1_3 Depth=1
	ds_load_b32 v0, v0
	s_cmp_eq_u32 s36, 0
	s_cbranch_scc1 .LBB1_8
; %bb.5:                                ;   in Loop: Header=BB1_3 Depth=1
	s_cbranch_execnz .LBB1_19
; %bb.6:                                ;   in Loop: Header=BB1_3 Depth=1
	s_waitcnt lgkmcnt(0)
	ds_load_b32 v1, v0
	s_waitcnt lgkmcnt(0)
	v_xor_b32_e32 v1, v1, v0
	s_delay_alu instid0(VALU_DEP_1) | instskip(NEXT) | instid1(VALU_DEP_1)
	v_and_b32_e32 v1, 0xff0000, v1
	v_cmp_eq_u32_e32 vcc_lo, 0, v1
	s_cbranch_vccnz .LBB1_8
; %bb.7:                                ;   in Loop: Header=BB1_3 Depth=1
	s_waitcnt_vscnt null, 0x0
	s_barrier
	buffer_gl0_inv
	ds_load_b32 v0, v0
.LBB1_8:                                ;   in Loop: Header=BB1_3 Depth=1
	s_waitcnt lgkmcnt(0)
	v_lshrrev_b32_e32 v0, 11, v0
	s_mov_b32 s37, exec_lo
	s_delay_alu instid0(VALU_DEP_1) | instskip(NEXT) | instid1(VALU_DEP_1)
	v_and_b32_e32 v1, 0x1fe0, v0
	v_cmpx_lt_u32_e64 v178, v1
	s_cbranch_execz .LBB1_10
; %bb.9:                                ;   in Loop: Header=BB1_3 Depth=1
	v_dual_mov_b32 v0, v178 :: v_dual_mov_b32 v3, s35
	s_getpc_b64 s[0:1]
	s_add_u32 s0, s0, _ZN12_GLOBAL__N_17runRingI6__half8FuncProdIS1_E7ProtoLLLi0ELi1ELi0EEEviiP15ncclDevWorkColl@rel32@lo+4
	s_addc_u32 s1, s1, _ZN12_GLOBAL__N_17runRingI6__half8FuncProdIS1_E7ProtoLLLi0ELi1ELi0EEEviiP15ncclDevWorkColl@rel32@hi+12
	s_mov_b64 s[28:29], s[8:9]
	s_mov_b32 s34, s12
	s_swappc_b64 s[30:31], s[0:1]
	s_mov_b32 s12, s34
	s_mov_b64 s[8:9], s[28:29]
.LBB1_10:                               ;   in Loop: Header=BB1_3 Depth=1
	s_or_b32 exec_lo, exec_lo, s37
	s_cbranch_execnz .LBB1_17
; %bb.11:                               ;   in Loop: Header=BB1_3 Depth=1
	ds_load_b32 v0, v0
	s_add_i32 s36, s36, 1
	s_waitcnt lgkmcnt(0)
	v_cmp_lt_i32_e32 vcc_lo, s36, v0
	s_cbranch_vccnz .LBB1_3
.LBB1_12:
	v_readlane_b32 s30, v40, 4
	v_readlane_b32 s31, v40, 5
	;; [unrolled: 1-line block ×7, first 2 shown]
	s_or_saveexec_b32 s1, -1
	scratch_load_b32 v40, off, s33          ; 4-byte Folded Reload
	s_mov_b32 exec_lo, s1
	s_add_i32 s32, s32, -16
	s_mov_b32 s33, s0
	s_waitcnt vmcnt(0)
	s_setpc_b64 s[30:31]
.LBB1_13:
	s_trap 2
	s_sendmsg_rtn_b32 s0, sendmsg(MSG_RTN_GET_DOORBELL)
	s_mov_b32 ttmp2, m0
	s_waitcnt lgkmcnt(0)
	s_and_b32 s0, s0, 0x3ff
	s_delay_alu instid0(SALU_CYCLE_1) | instskip(NEXT) | instid1(SALU_CYCLE_1)
	s_bitset1_b32 s0, 10
	s_mov_b32 m0, s0
	s_sendmsg sendmsg(MSG_INTERRUPT)
	s_mov_b32 m0, ttmp2
.LBB1_14:                               ; =>This Inner Loop Header: Depth=1
	s_sethalt 5
	s_branch .LBB1_14
.LBB1_15:
	s_trap 2
	s_sendmsg_rtn_b32 s0, sendmsg(MSG_RTN_GET_DOORBELL)
	s_mov_b32 ttmp2, m0
	s_waitcnt lgkmcnt(0)
	s_and_b32 s0, s0, 0x3ff
	s_delay_alu instid0(SALU_CYCLE_1) | instskip(NEXT) | instid1(SALU_CYCLE_1)
	s_bitset1_b32 s0, 10
	s_mov_b32 m0, s0
	s_sendmsg sendmsg(MSG_INTERRUPT)
	s_mov_b32 m0, ttmp2
.LBB1_16:                               ; =>This Inner Loop Header: Depth=1
	s_sethalt 5
	s_branch .LBB1_16
.LBB1_17:
	s_trap 2
	s_sendmsg_rtn_b32 s0, sendmsg(MSG_RTN_GET_DOORBELL)
	s_mov_b32 ttmp2, m0
	s_waitcnt lgkmcnt(0)
	s_and_b32 s0, s0, 0x3ff
	s_delay_alu instid0(SALU_CYCLE_1) | instskip(NEXT) | instid1(SALU_CYCLE_1)
	s_bitset1_b32 s0, 10
	s_mov_b32 m0, s0
	s_sendmsg sendmsg(MSG_INTERRUPT)
	s_mov_b32 m0, ttmp2
.LBB1_18:                               ; =>This Inner Loop Header: Depth=1
	s_sethalt 5
	s_branch .LBB1_18
.LBB1_19:
	s_trap 2
	s_sendmsg_rtn_b32 s0, sendmsg(MSG_RTN_GET_DOORBELL)
	s_mov_b32 ttmp2, m0
	s_waitcnt lgkmcnt(0)
	s_and_b32 s0, s0, 0x3ff
	s_delay_alu instid0(SALU_CYCLE_1) | instskip(NEXT) | instid1(SALU_CYCLE_1)
	s_bitset1_b32 s0, 10
	s_mov_b32 m0, s0
	s_sendmsg sendmsg(MSG_INTERRUPT)
	s_mov_b32 m0, ttmp2
.LBB1_20:                               ; =>This Inner Loop Header: Depth=1
	s_sethalt 5
	s_branch .LBB1_20
.Lfunc_end1:
	.size	_Z48ncclDevFunc_ReduceScatter_RING_LL_Prod_f16_0_0_1v, .Lfunc_end1-_Z48ncclDevFunc_ReduceScatter_RING_LL_Prod_f16_0_0_1v
                                        ; -- End function
	.section	.AMDGPU.csdata,"",@progbits
; Function info:
; codeLenInByte = 628
; NumSgprs: 40
; NumVgprs: 179
; ScratchSize: 16
; MemoryBound: 0
	.text
	.p2align	2                               ; -- Begin function _ZN12_GLOBAL__N_17runRingI6__half8FuncProdIS1_E7ProtoLLLi0ELi2ELi0EEEviiP15ncclDevWorkColl
	.type	_ZN12_GLOBAL__N_17runRingI6__half8FuncProdIS1_E7ProtoLLLi0ELi2ELi0EEEviiP15ncclDevWorkColl,@function
_ZN12_GLOBAL__N_17runRingI6__half8FuncProdIS1_E7ProtoLLLi0ELi2ELi0EEEviiP15ncclDevWorkColl: ; @_ZN12_GLOBAL__N_17runRingI6__half8FuncProdIS1_E7ProtoLLLi0ELi2ELi0EEEviiP15ncclDevWorkColl
; %bb.0:
	s_waitcnt vmcnt(0) expcnt(0) lgkmcnt(0)
	s_cbranch_execnz .LBB2_15
; %bb.1:
	v_mov_b32_e32 v4, v0
	s_clause 0x2
	flat_load_b32 v0, v[2:3]
	flat_load_b128 v[6:9], v[2:3] offset:72
	flat_load_b64 v[20:21], v[2:3] offset:88
	s_mov_b32 s0, exec_lo
                                        ; implicit-def: $vgpr18_vgpr19
                                        ; implicit-def: $vgpr24_vgpr25
	s_waitcnt vmcnt(2) lgkmcnt(2)
	v_and_b32_e32 v12, 0xff, v0
	v_bfe_u32 v11, v0, 8, 8
	ds_load_b32 v10, v0
	v_not_b32_e32 v5, v12
	s_delay_alu instid0(VALU_DEP_1)
	v_add_nc_u32_e32 v0, v11, v5
	ds_load_b64 v[22:23], v0
	v_ashrrev_i32_e32 v13, 31, v0
	s_waitcnt vmcnt(1) lgkmcnt(3)
	v_mul_lo_u32 v14, v9, v0
	v_mad_u64_u32 v[54:55], null, v8, v0, 0
	s_delay_alu instid0(VALU_DEP_3) | instskip(SKIP_2) | instid1(VALU_DEP_2)
	v_mul_lo_u32 v0, v8, v13
	s_waitcnt lgkmcnt(1)
	v_readfirstlane_b32 s14, v10
	v_add3_u32 v0, v55, v0, v14
	v_cmpx_ne_u32_e64 v12, v10
	s_xor_b32 s0, exec_lo, s0
	s_cbranch_execz .LBB2_7
; %bb.2:
	s_mov_b32 s1, exec_lo
                                        ; implicit-def: $vgpr18_vgpr19
                                        ; implicit-def: $vgpr24_vgpr25
	v_cmpx_ne_u32_e64 v11, v10
	s_xor_b32 s1, exec_lo, s1
	s_cbranch_execz .LBB2_4
; %bb.3:
	flat_load_b64 v[11:12], v[2:3] offset:96
	v_add_nc_u32_e32 v5, v10, v5
	s_delay_alu instid0(VALU_DEP_1) | instskip(SKIP_2) | instid1(VALU_DEP_3)
	v_ashrrev_i32_e32 v10, 31, v5
	v_mul_lo_u32 v13, v9, v5
	v_mad_u64_u32 v[24:25], null, v8, v5, v[6:7]
	v_mul_lo_u32 v10, v8, v10
	s_delay_alu instid0(VALU_DEP_1)
	v_add3_u32 v25, v13, v25, v10
	s_waitcnt vmcnt(0) lgkmcnt(0)
	v_lshrrev_b64 v[18:19], 18, v[11:12]
.LBB2_4:
	s_and_not1_saveexec_b32 s1, s1
	s_cbranch_execz .LBB2_6
; %bb.5:
	flat_load_b32 v5, v[2:3] offset:100
	v_add_co_u32 v24, vcc_lo, v54, v6
	v_add_co_ci_u32_e32 v25, vcc_lo, v0, v7, vcc_lo
	s_waitcnt vmcnt(1)
	v_dual_mov_b32 v8, v20 :: v_dual_mov_b32 v9, v21
	s_waitcnt vmcnt(0) lgkmcnt(0)
	v_lshrrev_b32_e32 v18, 7, v5
.LBB2_6:
	s_or_b32 exec_lo, exec_lo, s1
.LBB2_7:
	s_and_not1_saveexec_b32 s0, s0
	s_cbranch_execz .LBB2_9
; %bb.8:
	flat_load_b64 v[8:9], v[2:3] offset:96
	v_mov_b32_e32 v24, 0
	v_mov_b32_e32 v25, 0
	s_waitcnt vmcnt(0) lgkmcnt(0)
	v_lshlrev_b64 v[18:19], 3, v[8:9]
	v_dual_mov_b32 v9, v7 :: v_dual_mov_b32 v8, v6
.LBB2_9:
	s_or_b32 exec_lo, exec_lo, s0
	s_load_b32 s0, s[8:9], 0x0
	v_mov_b32_e32 v5, 0
	s_mov_b32 s2, 0
	s_waitcnt lgkmcnt(0)
	s_cmp_lt_u32 s12, s0
	s_cselect_b32 s0, 12, 18
	s_delay_alu instid0(SALU_CYCLE_1)
	s_add_u32 s0, s8, s0
	s_addc_u32 s1, s9, 0
	s_clause 0x2
	flat_load_b128 v[10:13], v[2:3] offset:16
	flat_load_u16 v15, v[2:3] offset:8
	flat_load_b32 v14, v[2:3] offset:4
	global_load_u16 v19, v5, s[0:1]
	s_cbranch_execnz .LBB2_17
; %bb.10:
	ds_load_b32 v2, v0
	v_ashrrev_i32_e32 v5, 31, v4
	s_waitcnt vmcnt(1) lgkmcnt(1)
	v_lshrrev_b64 v[14:15], 31, v[14:15]
	s_delay_alu instid0(VALU_DEP_2) | instskip(NEXT) | instid1(VALU_DEP_2)
	v_lshrrev_b32_e32 v3, 27, v5
	v_and_b32_e32 v15, 3, v14
	s_delay_alu instid0(VALU_DEP_2) | instskip(NEXT) | instid1(VALU_DEP_1)
	v_add_nc_u32_e32 v3, v4, v3
	v_and_b32_e32 v3, 0xffffffe0, v3
	s_waitcnt lgkmcnt(0)
	v_cmp_gt_i32_e32 vcc_lo, 0, v2
	s_delay_alu instid0(VALU_DEP_2)
	v_sub_nc_u32_e32 v14, v4, v3
	v_readfirstlane_b32 s1, v2
	s_cbranch_vccnz .LBB2_19
; %bb.11:
	s_delay_alu instid0(VALU_DEP_2)
	v_cmp_eq_u32_e32 vcc_lo, 0, v14
	s_cbranch_execnz .LBB2_23
; %bb.12:
	ds_load_b64 v[16:17], v0
	v_dual_mov_b32 v3, 0 :: v_dual_and_b32 v26, 0xffff, v15
	s_mov_b32 s2, 1
	s_delay_alu instid0(VALU_DEP_1) | instskip(SKIP_1) | instid1(VALU_DEP_1)
	v_lshlrev_b64 v[2:3], 3, v[2:3]
	s_waitcnt lgkmcnt(0)
	v_add_co_u32 v2, s0, v16, v2
	s_delay_alu instid0(VALU_DEP_1)
	v_add_co_ci_u32_e64 v3, s0, v17, v3, s0
	flat_load_b64 v[2:3], v[2:3]
	s_waitcnt vmcnt(0) lgkmcnt(0)
	v_mad_u64_u32 v[16:17], null, 0xa8, v26, v[2:3]
	s_clause 0x1
	flat_load_b64 v[28:29], v[16:17] offset:504
	flat_load_b64 v[32:33], v[16:17] offset:608
	v_add_co_u32 v2, s0, 0x1f8, v16
	s_delay_alu instid0(VALU_DEP_1) | instskip(NEXT) | instid1(VALU_DEP_1)
	v_add_co_ci_u32_e64 v3, s0, 0, v17, s0
	v_dual_cndmask_b32 v26, 0, v2 :: v_dual_cndmask_b32 v27, 0, v3
	s_cbranch_execz .LBB2_20
.LBB2_13:
	s_trap 2
	s_sendmsg_rtn_b32 s0, sendmsg(MSG_RTN_GET_DOORBELL)
	s_mov_b32 ttmp2, m0
	s_waitcnt lgkmcnt(0)
	s_and_b32 s0, s0, 0x3ff
	s_delay_alu instid0(SALU_CYCLE_1) | instskip(NEXT) | instid1(SALU_CYCLE_1)
	s_bitset1_b32 s0, 10
	s_mov_b32 m0, s0
	s_sendmsg sendmsg(MSG_INTERRUPT)
	s_mov_b32 m0, ttmp2
.LBB2_14:                               ; =>This Inner Loop Header: Depth=1
	s_sethalt 5
	s_branch .LBB2_14
.LBB2_15:
	s_trap 2
	s_sendmsg_rtn_b32 s0, sendmsg(MSG_RTN_GET_DOORBELL)
	s_mov_b32 ttmp2, m0
	s_waitcnt lgkmcnt(0)
	s_and_b32 s0, s0, 0x3ff
	s_delay_alu instid0(SALU_CYCLE_1) | instskip(NEXT) | instid1(SALU_CYCLE_1)
	s_bitset1_b32 s0, 10
	s_mov_b32 m0, s0
	s_sendmsg sendmsg(MSG_INTERRUPT)
	s_mov_b32 m0, ttmp2
.LBB2_16:                               ; =>This Inner Loop Header: Depth=1
	s_sethalt 5
	s_branch .LBB2_16
.LBB2_17:
	s_trap 2
	s_sendmsg_rtn_b32 s0, sendmsg(MSG_RTN_GET_DOORBELL)
	s_mov_b32 ttmp2, m0
	s_waitcnt lgkmcnt(0)
	s_and_b32 s0, s0, 0x3ff
	s_delay_alu instid0(SALU_CYCLE_1) | instskip(NEXT) | instid1(SALU_CYCLE_1)
	s_bitset1_b32 s0, 10
	s_mov_b32 m0, s0
	s_sendmsg sendmsg(MSG_INTERRUPT)
	s_mov_b32 m0, ttmp2
.LBB2_18:                               ; =>This Inner Loop Header: Depth=1
	s_sethalt 5
	s_branch .LBB2_18
.LBB2_19:
	v_mov_b32_e32 v26, 0
	v_mov_b32_e32 v27, 0
                                        ; implicit-def: $vgpr32_vgpr33
                                        ; implicit-def: $vgpr28_vgpr29
	s_cbranch_execnz .LBB2_13
.LBB2_20:
	ds_load_b32 v2, v0
	v_mov_b32_e32 v36, 0
	v_mov_b32_e32 v37, 0
	s_waitcnt lgkmcnt(0)
	v_cmp_gt_i32_e32 vcc_lo, 0, v2
	s_cbranch_vccnz .LBB2_25
; %bb.21:
	s_cbranch_execnz .LBB2_249
; %bb.22:
	ds_load_b64 v[16:17], v0
	v_mov_b32_e32 v3, 0
	s_delay_alu instid0(VALU_DEP_1) | instskip(SKIP_1) | instid1(VALU_DEP_1)
	v_lshlrev_b64 v[2:3], 3, v[2:3]
	s_waitcnt lgkmcnt(0)
	v_add_co_u32 v2, vcc_lo, v16, v2
	s_delay_alu instid0(VALU_DEP_2)
	v_add_co_ci_u32_e32 v3, vcc_lo, v17, v3, vcc_lo
	v_and_b32_e32 v17, 0xffff, v15
	v_cmp_eq_u32_e32 vcc_lo, 0, v14
	flat_load_b64 v[2:3], v[2:3]
	s_waitcnt vmcnt(0) lgkmcnt(0)
	v_mad_u64_u32 v[15:16], null, 0xa8, v17, v[2:3]
	s_clause 0x1
	flat_load_b64 v[38:39], v[15:16]
	flat_load_b64 v[98:99], v[15:16] offset:104
	v_dual_cndmask_b32 v34, 0, v15 :: v_dual_cndmask_b32 v35, 0, v16
	s_branch .LBB2_26
.LBB2_23:
	s_trap 2
	s_sendmsg_rtn_b32 s0, sendmsg(MSG_RTN_GET_DOORBELL)
	s_mov_b32 ttmp2, m0
	s_waitcnt lgkmcnt(0)
	s_and_b32 s0, s0, 0x3ff
	s_delay_alu instid0(SALU_CYCLE_1) | instskip(NEXT) | instid1(SALU_CYCLE_1)
	s_bitset1_b32 s0, 10
	s_mov_b32 m0, s0
	s_sendmsg sendmsg(MSG_INTERRUPT)
	s_mov_b32 m0, ttmp2
.LBB2_24:                               ; =>This Inner Loop Header: Depth=1
	s_sethalt 5
	s_branch .LBB2_24
.LBB2_25:
	s_delay_alu instid0(VALU_DEP_2)
	v_dual_mov_b32 v34, v36 :: v_dual_mov_b32 v35, v37
                                        ; implicit-def: $vgpr98_vgpr99
                                        ; implicit-def: $vgpr38_vgpr39
.LBB2_26:
	v_subrev_nc_u32_e32 v2, 32, v1
	v_cmp_gt_i32_e64 s0, s2, v14
                                        ; implicit-def: $vgpr48_vgpr49
	s_delay_alu instid0(VALU_DEP_2) | instskip(NEXT) | instid1(VALU_DEP_2)
	v_cmp_le_i32_e32 vcc_lo, v2, v4
	s_and_b32 s11, vcc_lo, s0
	s_delay_alu instid0(SALU_CYCLE_1)
	s_and_saveexec_b32 s0, s11
; %bb.27:
	s_clause 0x1
	flat_load_b64 v[36:37], v[26:27] offset:56
	flat_load_b64 v[48:49], v[26:27] offset:104
; %bb.28:
	s_or_b32 exec_lo, exec_lo, s0
	v_mov_b32_e32 v2, 0
	v_mov_b32_e32 v3, 0
	v_cmp_gt_i32_e64 s0, s2, v4
                                        ; implicit-def: $vgpr52_vgpr53
	s_delay_alu instid0(VALU_DEP_2) | instskip(SKIP_1) | instid1(VALU_DEP_3)
	v_dual_mov_b32 v15, v3 :: v_dual_mov_b32 v14, v2
	v_dual_mov_b32 v51, v3 :: v_dual_mov_b32 v50, v2
	s_and_saveexec_b32 s2, s0
	s_cbranch_execz .LBB2_30
; %bb.29:
	flat_load_b64 v[50:51], v[34:35] offset:56
	s_waitcnt vmcnt(0) lgkmcnt(0)
	flat_load_b64 v[52:53], v[50:51] glc dlc
	s_waitcnt vmcnt(0)
	flat_load_b128 v[14:17], v[34:35] offset:96
.LBB2_30:
	s_or_b32 exec_lo, exec_lo, s2
	s_waitcnt vmcnt(0)
	v_and_b32_e32 v30, 0xffff, v19
	s_mov_b32 s12, exec_lo
	v_cmpx_ne_u64_e32 0, v[8:9]
	s_cbranch_execz .LBB2_237
; %bb.31:
	v_dual_mov_b32 v55, 0 :: v_dual_and_b32 v64, 0xfffff8, v18
	v_add_co_u32 v2, vcc_lo, v20, v6
	s_ashr_i32 s2, s1, 31
	s_delay_alu instid0(VALU_DEP_2)
	v_dual_mov_b32 v65, v55 :: v_dual_lshlrev_b32 v68, 2, v4
	v_add_co_ci_u32_e32 v3, vcc_lo, v21, v7, vcc_lo
	s_lshr_b32 s2, s2, 29
	s_ashr_i32 s15, s14, 31
	v_add_co_u32 v6, vcc_lo, v2, v54
	v_ashrrev_i32_e32 v69, 31, v68
	s_add_i32 s1, s1, s2
	s_lshl_b64 s[2:3], s[14:15], 2
	v_ashrrev_i32_e32 v2, 31, v1
	v_add_co_ci_u32_e32 v7, vcc_lo, v3, v0, vcc_lo
	v_add_co_u32 v0, vcc_lo, v22, s2
	v_add_co_ci_u32_e32 v3, vcc_lo, s3, v23, vcc_lo
	v_lshlrev_b64 v[80:81], 1, v[68:69]
	v_lshrrev_b32_e32 v19, 27, v2
	s_delay_alu instid0(VALU_DEP_4) | instskip(NEXT) | instid1(VALU_DEP_4)
	v_add_co_u32 v66, vcc_lo, v0, -4
	v_add_co_ci_u32_e32 v67, vcc_lo, -1, v3, vcc_lo
	v_dual_mov_b32 v86, 0 :: v_dual_and_b32 v3, 31, v31
	s_delay_alu instid0(VALU_DEP_4)
	v_dual_mov_b32 v87, 0 :: v_dual_add_nc_u32 v0, v1, v19
	v_add_co_u32 v119, vcc_lo, v12, v80
	v_lshlrev_b64 v[19:20], 1, v[24:25]
	v_add_co_ci_u32_e32 v128, vcc_lo, v13, v81, vcc_lo
	v_add_co_u32 v129, vcc_lo, v10, v80
	v_cmp_eq_u32_e64 s5, 0, v3
	v_dual_mov_b32 v144, 0 :: v_dual_lshlrev_b32 v3, 1, v24
	v_dual_mov_b32 v135, 1 :: v_dual_lshlrev_b32 v70, 2, v1
	v_add_co_ci_u32_e32 v130, vcc_lo, v11, v81, vcc_lo
	v_and_b32_e32 v54, 1, v10
	v_add_co_u32 v10, vcc_lo, v119, v19
	v_ashrrev_i32_e32 v118, 5, v0
	v_lshlrev_b32_e32 v0, 1, v18
	v_add_co_ci_u32_e32 v11, vcc_lo, v128, v20, vcc_lo
	v_lshlrev_b32_e32 v20, 4, v18
	v_lshlrev_b64 v[18:19], 4, v[4:5]
	v_lshl_add_u32 v3, v4, 3, v3
	v_ashrrev_i32_e32 v71, 31, v70
	s_ashr_i32 s4, s1, 3
	v_and_b32_e32 v131, 0x1fffff0, v0
	v_lshlrev_b64 v[96:97], 4, v[1:2]
	v_add_lshl_u32 v0, v3, v12, 3
	v_mov_b32_e32 v2, v86
	s_waitcnt lgkmcnt(1)
	v_add_co_u32 v133, vcc_lo, v38, v18
	s_ashr_i32 s13, s1, 7
	v_cmp_ne_u64_e64 s1, 0, v[50:51]
	s_waitcnt lgkmcnt(0)
	v_cmp_ne_u64_e64 s2, 0, v[14:15]
	v_cmp_ne_u64_e64 s6, 0, v[36:37]
	v_lshlrev_b64 v[82:83], 1, v[6:7]
	v_lshlrev_b64 v[84:85], 1, v[70:71]
	v_mov_b32_e32 v3, v87
	v_cmp_eq_u64_e64 s7, 0, v[54:55]
	s_and_b32 s15, s4, -16
	v_cmp_ne_u32_e64 s3, 32, v1
	v_cmp_ne_u32_e64 s4, v30, v1
	v_ashrrev_i32_e32 v69, 31, v118
	v_and_b32_e32 v5, 0xfffff80, v20
	v_lshlrev_b32_e32 v71, 4, v6
	v_lshlrev_b32_e32 v132, 6, v1
	v_add_co_ci_u32_e32 v134, vcc_lo, v39, v19, vcc_lo
	s_cmp_gt_i32 s14, 2
	s_mov_b32 s16, 0
	s_cselect_b32 s17, -1, 0
.LBB2_32:                               ; =>This Loop Header: Depth=1
                                        ;     Child Loop BB2_39 Depth 2
                                        ;     Child Loop BB2_59 Depth 2
	;; [unrolled: 1-line block ×5, first 2 shown]
                                        ;       Child Loop BB2_92 Depth 3
                                        ;       Child Loop BB2_112 Depth 3
	;; [unrolled: 1-line block ×3, first 2 shown]
                                        ;         Child Loop BB2_138 Depth 4
                                        ;       Child Loop BB2_160 Depth 3
                                        ;       Child Loop BB2_177 Depth 3
                                        ;     Child Loop BB2_182 Depth 2
                                        ;       Child Loop BB2_190 Depth 3
                                        ;     Child Loop BB2_220 Depth 2
	s_waitcnt vmcnt(0) lgkmcnt(0)
	flat_load_b32 v20, v[66:67]
	v_sub_co_u32 v18, vcc_lo, v8, v86
	v_sub_co_ci_u32_e32 v19, vcc_lo, v9, v87, vcc_lo
	s_delay_alu instid0(VALU_DEP_1) | instskip(SKIP_1) | instid1(VALU_DEP_1)
	v_cmp_lt_u64_e32 vcc_lo, v[64:65], v[18:19]
	v_cndmask_b32_e32 v21, v18, v64, vcc_lo
	v_lshl_add_u32 v18, v21, 2, 12
	s_delay_alu instid0(VALU_DEP_1)
	v_and_b32_e32 v146, 0x7fffff0, v18
	s_and_saveexec_b32 s8, s1
	s_cbranch_execz .LBB2_50
; %bb.33:                               ;   in Loop: Header=BB2_32 Depth=1
	v_add_co_u32 v18, vcc_lo, v16, 1
	v_add_co_ci_u32_e32 v19, vcc_lo, 0, v17, vcc_lo
	v_add_co_u32 v100, vcc_lo, v52, 8
	v_add_co_ci_u32_e32 v101, vcc_lo, 0, v53, vcc_lo
	s_mov_b32 s9, exec_lo
	s_delay_alu instid0(VALU_DEP_1)
	v_cmpx_lt_u64_e64 v[100:101], v[18:19]
	s_cbranch_execz .LBB2_47
; %bb.34:                               ;   in Loop: Header=BB2_32 Depth=1
	s_sleep 1
	flat_load_b64 v[52:53], v[50:51] glc
	v_cmp_eq_u32_e32 vcc_lo, 0, v144
	s_and_saveexec_b32 s10, vcc_lo
	s_cbranch_execz .LBB2_46
; %bb.35:                               ;   in Loop: Header=BB2_32 Depth=1
	v_cndmask_b32_e64 v17, 0, 1, vcc_lo
	s_mov_b32 s18, 0
                                        ; implicit-def: $sgpr19
	s_branch .LBB2_39
.LBB2_36:                               ;   in Loop: Header=BB2_39 Depth=2
	s_or_b32 exec_lo, exec_lo, s22
	s_delay_alu instid0(SALU_CYCLE_1)
	s_or_not1_b32 s22, s23, exec_lo
.LBB2_37:                               ;   in Loop: Header=BB2_39 Depth=2
	s_or_b32 exec_lo, exec_lo, s21
	s_xor_b32 s21, s22, -1
	s_and_not1_b32 s19, s19, exec_lo
	s_and_b32 s21, s21, exec_lo
	s_delay_alu instid0(SALU_CYCLE_1)
	s_or_b32 s19, s19, s21
.LBB2_38:                               ;   in Loop: Header=BB2_39 Depth=2
	s_or_b32 exec_lo, exec_lo, s20
	s_delay_alu instid0(SALU_CYCLE_1) | instskip(NEXT) | instid1(SALU_CYCLE_1)
	s_and_b32 s20, exec_lo, s19
	s_or_b32 s18, s20, s18
	s_delay_alu instid0(SALU_CYCLE_1)
	s_and_not1_b32 exec_lo, exec_lo, s18
	s_cbranch_execz .LBB2_45
.LBB2_39:                               ;   Parent Loop BB2_32 Depth=1
                                        ; =>  This Inner Loop Header: Depth=2
	s_waitcnt vmcnt(0) lgkmcnt(0)
	v_add_co_u32 v100, vcc_lo, v52, 8
	v_add_co_ci_u32_e32 v101, vcc_lo, 0, v53, vcc_lo
	v_mov_b32_e32 v144, 0
	s_or_b32 s19, s19, exec_lo
	s_mov_b32 s20, exec_lo
	s_delay_alu instid0(VALU_DEP_2)
	v_cmpx_lt_u64_e64 v[100:101], v[18:19]
	s_cbranch_execz .LBB2_38
; %bb.40:                               ;   in Loop: Header=BB2_39 Depth=2
	s_sleep 1
	flat_load_b64 v[52:53], v[50:51] glc
	v_dual_mov_b32 v144, 0 :: v_dual_add_nc_u32 v17, 1, v17
	s_mov_b32 s22, -1
	s_mov_b32 s21, exec_lo
	s_delay_alu instid0(VALU_DEP_1)
	v_cmpx_eq_u32_e32 0x2710, v17
	s_cbranch_execz .LBB2_37
; %bb.41:                               ;   in Loop: Header=BB2_39 Depth=2
	s_cbranch_execnz .LBB2_255
; %bb.42:                               ;   in Loop: Header=BB2_39 Depth=2
	ds_load_b64 v[100:101], v0
	v_dual_mov_b32 v17, 0 :: v_dual_mov_b32 v144, 0
	s_mov_b32 s23, -1
	s_mov_b32 s22, exec_lo
	s_waitcnt vmcnt(0) lgkmcnt(0)
	s_waitcnt_vscnt null, 0x0
	flat_load_b32 v54, v[100:101] glc
	s_waitcnt vmcnt(0) lgkmcnt(0)
	buffer_gl1_inv
	buffer_gl0_inv
	v_cmpx_ne_u32_e32 0, v54
	s_cbranch_execz .LBB2_36
; %bb.43:                               ;   in Loop: Header=BB2_39 Depth=2
	ds_store_b32 v0, v54
	s_cbranch_execnz .LBB2_280
; %bb.44:                               ;   in Loop: Header=BB2_39 Depth=2
	v_mov_b32_e32 v144, 1
	s_xor_b32 s23, exec_lo, -1
	s_branch .LBB2_36
.LBB2_45:                               ;   in Loop: Header=BB2_32 Depth=1
	s_or_b32 exec_lo, exec_lo, s18
.LBB2_46:                               ;   in Loop: Header=BB2_32 Depth=1
	s_delay_alu instid0(SALU_CYCLE_1)
	s_or_b32 exec_lo, exec_lo, s10
.LBB2_47:                               ;   in Loop: Header=BB2_32 Depth=1
	s_delay_alu instid0(SALU_CYCLE_1)
	s_or_b32 exec_lo, exec_lo, s9
	s_and_saveexec_b32 s9, s2
	s_cbranch_execz .LBB2_49
; %bb.48:                               ;   in Loop: Header=BB2_32 Depth=1
	v_and_b32_e32 v54, 0x7ffffff8, v16
	v_and_b32_e32 v17, 7, v16
	s_delay_alu instid0(VALU_DEP_2) | instskip(NEXT) | instid1(VALU_DEP_2)
	v_cmp_eq_u64_e32 vcc_lo, 0x7ffffff8, v[54:55]
	v_mad_u64_u32 v[100:101], null, v17, 24, v[14:15]
	v_cndmask_b32_e64 v16, v146, s15, vcc_lo
	s_delay_alu instid0(VALU_DEP_1)
	v_ashrrev_i32_e32 v17, 31, v16
	flat_store_b64 v[100:101], v[16:17] offset:8 dlc
	s_waitcnt_vscnt null, 0x0
.LBB2_49:                               ;   in Loop: Header=BB2_32 Depth=1
	s_or_b32 exec_lo, exec_lo, s9
	v_dual_mov_b32 v16, v18 :: v_dual_mov_b32 v17, v19
.LBB2_50:                               ;   in Loop: Header=BB2_32 Depth=1
	s_or_b32 exec_lo, exec_lo, s8
	s_and_saveexec_b32 s8, s3
	s_cbranch_execz .LBB2_72
; %bb.51:                               ;   in Loop: Header=BB2_32 Depth=1
	s_and_saveexec_b32 s9, s4
	s_delay_alu instid0(SALU_CYCLE_1)
	s_xor_b32 s9, exec_lo, s9
	s_cbranch_execz .LBB2_69
; %bb.52:                               ;   in Loop: Header=BB2_32 Depth=1
	s_and_saveexec_b32 s10, s5
	s_cbranch_execz .LBB2_68
; %bb.53:                               ;   in Loop: Header=BB2_32 Depth=1
	s_mov_b32 s19, exec_lo
	s_mov_b32 s18, exec_lo
	v_mbcnt_lo_u32_b32 v18, s19, 0
	s_waitcnt vmcnt(0) lgkmcnt(0)
	s_waitcnt_vscnt null, 0x0
	buffer_gl1_inv
	buffer_gl0_inv
	v_cmpx_eq_u32_e32 0, v18
	s_cbranch_execz .LBB2_55
; %bb.54:                               ;   in Loop: Header=BB2_32 Depth=1
	s_bcnt1_i32_b32 s19, s19
	s_delay_alu instid0(SALU_CYCLE_1)
	v_mov_b32_e32 v54, s19
	ds_add_u64 v0, v[54:55]
	s_cbranch_execnz .LBB2_274
.LBB2_55:                               ;   in Loop: Header=BB2_32 Depth=1
	s_or_b32 exec_lo, exec_lo, s18
	s_cbranch_execnz .LBB2_261
; %bb.56:                               ;   in Loop: Header=BB2_32 Depth=1
	ds_load_b64 v[18:19], v0
	v_add_co_u32 v2, vcc_lo, v2, v118
	v_add_co_ci_u32_e32 v3, vcc_lo, v3, v69, vcc_lo
	s_mov_b32 s18, exec_lo
	s_waitcnt lgkmcnt(0)
	s_delay_alu instid0(VALU_DEP_1)
	v_cmpx_lt_u64_e64 v[18:19], v[2:3]
	s_cbranch_execz .LBB2_67
; %bb.57:                               ;   in Loop: Header=BB2_32 Depth=1
	s_mov_b32 s19, 0
	s_mov_b32 s22, 0
                                        ; implicit-def: $sgpr20
                                        ; implicit-def: $sgpr21
	s_branch .LBB2_59
.LBB2_58:                               ;   in Loop: Header=BB2_59 Depth=2
	s_or_b32 exec_lo, exec_lo, s25
	s_delay_alu instid0(SALU_CYCLE_1) | instskip(NEXT) | instid1(SALU_CYCLE_1)
	s_and_b32 s23, exec_lo, s24
	s_or_b32 s19, s23, s19
	s_and_not1_b32 s20, s20, exec_lo
	s_and_b32 s23, s21, exec_lo
	s_delay_alu instid0(SALU_CYCLE_1)
	s_or_b32 s20, s20, s23
	s_and_not1_b32 exec_lo, exec_lo, s19
	s_cbranch_execz .LBB2_65
.LBB2_59:                               ;   Parent Loop BB2_32 Depth=1
                                        ; =>  This Inner Loop Header: Depth=2
	s_add_i32 s22, s22, 1
                                        ; implicit-def: $sgpr24
	s_delay_alu instid0(SALU_CYCLE_1) | instskip(SKIP_1) | instid1(SALU_CYCLE_1)
	s_cmpk_lg_i32 s22, 0x2710
	s_cselect_b32 s23, -1, 0
	s_and_b32 vcc_lo, exec_lo, s23
	s_cbranch_vccz .LBB2_63
.LBB2_60:                               ;   in Loop: Header=BB2_59 Depth=2
	s_and_not1_b32 s21, s21, exec_lo
	s_and_b32 s25, s24, exec_lo
	s_mov_b32 s24, -1
	s_or_b32 s21, s21, s25
	s_and_saveexec_b32 s25, s23
	s_cbranch_execz .LBB2_58
; %bb.61:                               ;   in Loop: Header=BB2_59 Depth=2
	s_sleep 1
	s_cbranch_execnz .LBB2_288
; %bb.62:                               ;   in Loop: Header=BB2_59 Depth=2
	ds_load_b64 v[18:19], v0
	s_and_not1_b32 s21, s21, exec_lo
	s_waitcnt lgkmcnt(0)
	v_cmp_ge_u64_e32 vcc_lo, v[18:19], v[2:3]
	s_or_not1_b32 s24, vcc_lo, exec_lo
	s_branch .LBB2_58
.LBB2_63:                               ;   in Loop: Header=BB2_59 Depth=2
	s_cbranch_execnz .LBB2_296
; %bb.64:                               ;   in Loop: Header=BB2_59 Depth=2
	ds_load_b64 v[18:19], v0
	s_and_not1_b32 s23, s23, exec_lo
	s_mov_b32 s22, 0
	s_mov_b32 s24, -1
	s_waitcnt lgkmcnt(0)
	flat_load_b32 v18, v[18:19] glc
	s_waitcnt vmcnt(0) lgkmcnt(0)
	buffer_gl1_inv
	buffer_gl0_inv
	v_cmp_eq_u32_e32 vcc_lo, 0, v18
	s_and_b32 s25, vcc_lo, exec_lo
	s_delay_alu instid0(SALU_CYCLE_1)
	s_or_b32 s23, s23, s25
	s_branch .LBB2_60
.LBB2_65:                               ;   in Loop: Header=BB2_32 Depth=1
	s_or_b32 exec_lo, exec_lo, s19
	s_and_saveexec_b32 s19, s20
	s_delay_alu instid0(SALU_CYCLE_1)
	s_xor_b32 s19, exec_lo, s19
	s_cbranch_execz .LBB2_67
; %bb.66:                               ;   in Loop: Header=BB2_32 Depth=1
	ds_store_b32 v0, v135
	s_cbranch_execnz .LBB2_321
.LBB2_67:                               ;   in Loop: Header=BB2_32 Depth=1
	s_or_b32 exec_lo, exec_lo, s18
	;;#ASMSTART
	s_wakeup
	;;#ASMEND
.LBB2_68:                               ;   in Loop: Header=BB2_32 Depth=1
	s_or_b32 exec_lo, exec_lo, s10
.LBB2_69:                               ;   in Loop: Header=BB2_32 Depth=1
	s_and_not1_saveexec_b32 s9, s9
	s_cbranch_execz .LBB2_71
; %bb.70:                               ;   in Loop: Header=BB2_32 Depth=1
	s_waitcnt vmcnt(0) lgkmcnt(0)
	s_waitcnt_vscnt null, 0x0
	buffer_gl1_inv
	buffer_gl0_inv
	s_barrier
.LBB2_71:                               ;   in Loop: Header=BB2_32 Depth=1
	s_or_b32 exec_lo, exec_lo, s9
.LBB2_72:                               ;   in Loop: Header=BB2_32 Depth=1
	s_delay_alu instid0(SALU_CYCLE_1) | instskip(SKIP_2) | instid1(VALU_DEP_2)
	s_or_b32 exec_lo, exec_lo, s8
	v_sub_nc_u32_e32 v145, v21, v68
	v_mov_b32_e32 v100, v4
	v_cmp_lt_i32_e64 s8, 0, v145
	s_delay_alu instid0(VALU_DEP_1)
	s_and_saveexec_b32 s10, s8
	s_cbranch_execz .LBB2_80
; %bb.73:                               ;   in Loop: Header=BB2_32 Depth=1
	v_and_b32_e32 v18, 7, v98
	s_waitcnt vmcnt(0) lgkmcnt(0)
	v_ashrrev_i32_e32 v21, 31, v20
	v_mov_b32_e32 v100, v98
	v_mad_u64_u32 v[101:102], null, v82, v20, v[10:11]
	v_mul_lo_u32 v18, v18, s13
	v_mul_lo_u32 v114, v83, v20
	;; [unrolled: 1-line block ×3, first 2 shown]
	v_mad_u64_u32 v[112:113], null, v71, v20, v[0:1]
	v_add_co_u32 v103, vcc_lo, 0, 0
	v_mov_b32_e32 v54, v145
	v_ashrrev_i32_e32 v19, 31, v18
	s_mov_b32 s18, 0
	v_add3_u32 v102, v114, v102, v115
	s_delay_alu instid0(VALU_DEP_2) | instskip(SKIP_2) | instid1(VALU_DEP_3)
	v_lshlrev_b64 v[20:21], 4, v[18:19]
	v_add_co_ci_u32_e32 v19, vcc_lo, 1, v100, vcc_lo
	v_mov_b32_e32 v100, v4
	v_add_co_u32 v113, vcc_lo, v133, v20
	s_delay_alu instid0(VALU_DEP_4)
	v_add_co_ci_u32_e32 v114, vcc_lo, v134, v21, vcc_lo
	s_branch .LBB2_75
.LBB2_74:                               ;   in Loop: Header=BB2_75 Depth=2
	s_or_b32 exec_lo, exec_lo, s9
	s_waitcnt vmcnt(0) lgkmcnt(0)
	v_alignbit_b32 v18, v147, v18, v112
	v_alignbit_b32 v20, v117, v147, v112
	v_dual_mov_b32 v21, v19 :: v_dual_add_nc_u32 v100, v100, v1
	v_sub_nc_u32_e32 v54, v54, v70
	s_delay_alu instid0(VALU_DEP_4) | instskip(NEXT) | instid1(VALU_DEP_4)
	v_or_b32_e32 v18, v103, v18
	v_or_b32_e32 v20, v103, v20
	v_add_co_u32 v101, vcc_lo, v101, v84
	v_add_co_ci_u32_e32 v102, vcc_lo, v102, v85, vcc_lo
	global_store_b128 v[113:114], v[18:21], off
	v_cmp_gt_i32_e32 vcc_lo, 1, v54
	v_add_co_u32 v113, s9, v113, v96
	v_add_nc_u32_e32 v112, v112, v132
	v_add_co_ci_u32_e64 v114, s9, v114, v97, s9
	s_or_b32 s18, vcc_lo, s18
	s_delay_alu instid0(SALU_CYCLE_1)
	s_and_not1_b32 exec_lo, exec_lo, s18
	s_cbranch_execz .LBB2_79
.LBB2_75:                               ;   Parent Loop BB2_32 Depth=1
                                        ; =>  This Inner Loop Header: Depth=2
	v_dual_mov_b32 v21, v102 :: v_dual_and_b32 v20, -4, v101
	v_min_u32_e32 v115, 4, v54
	v_dual_mov_b32 v117, 0 :: v_dual_and_b32 v116, 3, v101
	v_mov_b32_e32 v147, 0
	flat_load_b32 v18, v[20:21] glc
	v_lshlrev_b32_e32 v115, 1, v115
	s_delay_alu instid0(VALU_DEP_1) | instskip(NEXT) | instid1(VALU_DEP_1)
	v_add_co_u32 v115, s9, v116, v115
	v_add_co_ci_u32_e64 v116, null, 0, 0, s9
	s_mov_b32 s9, exec_lo
	s_delay_alu instid0(VALU_DEP_1)
	v_cmpx_lt_u64_e32 4, v[115:116]
	s_cbranch_execz .LBB2_77
; %bb.76:                               ;   in Loop: Header=BB2_75 Depth=2
	flat_load_b32 v147, v[20:21] offset:4 glc
.LBB2_77:                               ;   in Loop: Header=BB2_75 Depth=2
	s_or_b32 exec_lo, exec_lo, s9
	s_delay_alu instid0(SALU_CYCLE_1)
	s_mov_b32 s9, exec_lo
	v_cmpx_lt_u64_e32 8, v[115:116]
	s_cbranch_execz .LBB2_74
; %bb.78:                               ;   in Loop: Header=BB2_75 Depth=2
	flat_load_b32 v117, v[20:21] offset:8 glc
	s_branch .LBB2_74
.LBB2_79:                               ;   in Loop: Header=BB2_32 Depth=1
	s_or_b32 exec_lo, exec_lo, s18
.LBB2_80:                               ;   in Loop: Header=BB2_32 Depth=1
	s_delay_alu instid0(SALU_CYCLE_1) | instskip(SKIP_2) | instid1(VALU_DEP_2)
	s_or_b32 exec_lo, exec_lo, s10
	v_and_b32_e32 v54, 0x7ffffff8, v98
	v_cmp_gt_i32_e64 s9, s13, v100
	v_cmp_eq_u64_e32 vcc_lo, 0x7ffffff8, v[54:55]
	s_delay_alu instid0(VALU_DEP_2) | instskip(NEXT) | instid1(SALU_CYCLE_1)
	s_and_b32 s9, vcc_lo, s9
	s_and_saveexec_b32 s10, s9
	s_cbranch_execz .LBB2_83
; %bb.81:                               ;   in Loop: Header=BB2_32 Depth=1
	v_and_b32_e32 v18, 7, v98
	v_ashrrev_i32_e32 v101, 31, v100
	v_mov_b32_e32 v54, v98
	s_mov_b32 s18, 0
	s_delay_alu instid0(VALU_DEP_3) | instskip(SKIP_2) | instid1(VALU_DEP_2)
	v_mul_lo_u32 v18, v18, s13
	s_waitcnt vmcnt(0) lgkmcnt(0)
	v_lshlrev_b64 v[20:21], 4, v[100:101]
	v_ashrrev_i32_e32 v19, 31, v18
	s_delay_alu instid0(VALU_DEP_1) | instskip(NEXT) | instid1(VALU_DEP_1)
	v_lshlrev_b64 v[18:19], 4, v[18:19]
	v_add_co_u32 v20, vcc_lo, v20, v18
	s_delay_alu instid0(VALU_DEP_2) | instskip(SKIP_2) | instid1(VALU_DEP_4)
	v_add_co_ci_u32_e32 v21, vcc_lo, v21, v19, vcc_lo
	v_add_co_u32 v18, vcc_lo, 0, 0
	v_add_co_ci_u32_e32 v19, vcc_lo, 1, v54, vcc_lo
	v_add_co_u32 v101, vcc_lo, v38, v20
	s_delay_alu instid0(VALU_DEP_4)
	v_add_co_ci_u32_e32 v102, vcc_lo, v39, v21, vcc_lo
.LBB2_82:                               ;   Parent Loop BB2_32 Depth=1
                                        ; =>  This Inner Loop Header: Depth=2
	s_delay_alu instid0(VALU_DEP_3) | instskip(SKIP_4) | instid1(VALU_DEP_1)
	v_dual_mov_b32 v20, v18 :: v_dual_mov_b32 v21, v19
	v_add_nc_u32_e32 v100, v100, v1
	global_store_b128 v[101:102], v[18:21], off
	v_cmp_le_i32_e32 vcc_lo, s13, v100
	v_add_co_u32 v101, s9, v101, v96
	v_add_co_ci_u32_e64 v102, s9, v102, v97, s9
	s_or_b32 s18, vcc_lo, s18
	s_delay_alu instid0(SALU_CYCLE_1)
	s_and_not1_b32 exec_lo, exec_lo, s18
	s_cbranch_execnz .LBB2_82
.LBB2_83:                               ;   in Loop: Header=BB2_32 Depth=1
	s_or_b32 exec_lo, exec_lo, s10
	v_add_co_u32 v100, vcc_lo, v86, v24
	v_add_co_ci_u32_e32 v101, vcc_lo, v87, v25, vcc_lo
	v_add_co_u32 v102, vcc_lo, v98, 1
	v_add_co_ci_u32_e32 v103, vcc_lo, 0, v99, vcc_lo
	s_and_not1_b32 vcc_lo, exec_lo, s17
	s_cbranch_vccnz .LBB2_179
; %bb.84:                               ;   in Loop: Header=BB2_32 Depth=1
	v_lshlrev_b64 v[18:19], 1, v[100:101]
	v_add_nc_u16 v149, v98, 1
	s_mov_b32 s18, 2
	s_delay_alu instid0(VALU_DEP_2) | instskip(NEXT) | instid1(VALU_DEP_3)
	v_add_co_u32 v147, vcc_lo, v119, v18
	v_add_co_ci_u32_e32 v148, vcc_lo, v128, v19, vcc_lo
.LBB2_85:                               ;   Parent Loop BB2_32 Depth=1
                                        ; =>  This Loop Header: Depth=2
                                        ;       Child Loop BB2_92 Depth 3
                                        ;       Child Loop BB2_112 Depth 3
	;; [unrolled: 1-line block ×3, first 2 shown]
                                        ;         Child Loop BB2_138 Depth 4
                                        ;       Child Loop BB2_160 Depth 3
                                        ;       Child Loop BB2_177 Depth 3
	s_sub_i32 s20, s14, s18
	s_delay_alu instid0(SALU_CYCLE_1) | instskip(NEXT) | instid1(SALU_CYCLE_1)
	s_ashr_i32 s21, s20, 31
	s_lshl_b64 s[20:21], s[20:21], 2
	s_delay_alu instid0(SALU_CYCLE_1)
	v_add_co_u32 v18, vcc_lo, v22, s20
	v_add_co_ci_u32_e32 v19, vcc_lo, s21, v23, vcc_lo
	s_waitcnt vmcnt(0) lgkmcnt(0)
	flat_load_b32 v20, v[18:19]
	s_and_saveexec_b32 s9, s1
	s_cbranch_execz .LBB2_103
; %bb.86:                               ;   in Loop: Header=BB2_85 Depth=2
	v_add_co_u32 v18, vcc_lo, v16, 1
	v_add_co_ci_u32_e32 v19, vcc_lo, 0, v17, vcc_lo
	v_add_co_u32 v98, vcc_lo, v52, 8
	v_add_co_ci_u32_e32 v99, vcc_lo, 0, v53, vcc_lo
	s_mov_b32 s10, exec_lo
	s_delay_alu instid0(VALU_DEP_1)
	v_cmpx_lt_u64_e64 v[98:99], v[18:19]
	s_cbranch_execz .LBB2_100
; %bb.87:                               ;   in Loop: Header=BB2_85 Depth=2
	s_sleep 1
	flat_load_b64 v[52:53], v[50:51] glc
	v_cmp_eq_u32_e32 vcc_lo, 0, v144
	s_and_saveexec_b32 s19, vcc_lo
	s_cbranch_execz .LBB2_99
; %bb.88:                               ;   in Loop: Header=BB2_85 Depth=2
	v_cndmask_b32_e64 v17, 0, 1, vcc_lo
	s_mov_b32 s20, 0
                                        ; implicit-def: $sgpr21
	s_branch .LBB2_92
.LBB2_89:                               ;   in Loop: Header=BB2_92 Depth=3
	s_or_b32 exec_lo, exec_lo, s24
	s_delay_alu instid0(SALU_CYCLE_1)
	s_or_not1_b32 s24, s25, exec_lo
.LBB2_90:                               ;   in Loop: Header=BB2_92 Depth=3
	s_or_b32 exec_lo, exec_lo, s23
	s_xor_b32 s23, s24, -1
	s_and_not1_b32 s21, s21, exec_lo
	s_and_b32 s23, s23, exec_lo
	s_delay_alu instid0(SALU_CYCLE_1)
	s_or_b32 s21, s21, s23
.LBB2_91:                               ;   in Loop: Header=BB2_92 Depth=3
	s_or_b32 exec_lo, exec_lo, s22
	s_delay_alu instid0(SALU_CYCLE_1) | instskip(NEXT) | instid1(SALU_CYCLE_1)
	s_and_b32 s22, exec_lo, s21
	s_or_b32 s20, s22, s20
	s_delay_alu instid0(SALU_CYCLE_1)
	s_and_not1_b32 exec_lo, exec_lo, s20
	s_cbranch_execz .LBB2_98
.LBB2_92:                               ;   Parent Loop BB2_32 Depth=1
                                        ;     Parent Loop BB2_85 Depth=2
                                        ; =>    This Inner Loop Header: Depth=3
	s_waitcnt vmcnt(0) lgkmcnt(0)
	v_add_co_u32 v98, vcc_lo, v52, 8
	v_add_co_ci_u32_e32 v99, vcc_lo, 0, v53, vcc_lo
	v_mov_b32_e32 v144, 0
	s_or_b32 s21, s21, exec_lo
	s_mov_b32 s22, exec_lo
	s_delay_alu instid0(VALU_DEP_2)
	v_cmpx_lt_u64_e64 v[98:99], v[18:19]
	s_cbranch_execz .LBB2_91
; %bb.93:                               ;   in Loop: Header=BB2_92 Depth=3
	s_sleep 1
	flat_load_b64 v[52:53], v[50:51] glc
	v_dual_mov_b32 v144, 0 :: v_dual_add_nc_u32 v17, 1, v17
	s_mov_b32 s24, -1
	s_mov_b32 s23, exec_lo
	s_delay_alu instid0(VALU_DEP_1)
	v_cmpx_eq_u32_e32 0x2710, v17
	s_cbranch_execz .LBB2_90
; %bb.94:                               ;   in Loop: Header=BB2_92 Depth=3
	s_cbranch_execnz .LBB2_257
; %bb.95:                               ;   in Loop: Header=BB2_92 Depth=3
	ds_load_b64 v[98:99], v0
	v_dual_mov_b32 v17, 0 :: v_dual_mov_b32 v144, 0
	s_mov_b32 s25, -1
	s_mov_b32 s24, exec_lo
	s_waitcnt vmcnt(0) lgkmcnt(0)
	s_waitcnt_vscnt null, 0x0
	flat_load_b32 v21, v[98:99] glc
	s_waitcnt vmcnt(0) lgkmcnt(0)
	buffer_gl1_inv
	buffer_gl0_inv
	v_cmpx_ne_u32_e32 0, v21
	s_cbranch_execz .LBB2_89
; %bb.96:                               ;   in Loop: Header=BB2_92 Depth=3
	ds_store_b32 v0, v21
	s_cbranch_execnz .LBB2_284
; %bb.97:                               ;   in Loop: Header=BB2_92 Depth=3
	v_mov_b32_e32 v144, 1
	s_xor_b32 s25, exec_lo, -1
	s_branch .LBB2_89
.LBB2_98:                               ;   in Loop: Header=BB2_85 Depth=2
	s_or_b32 exec_lo, exec_lo, s20
.LBB2_99:                               ;   in Loop: Header=BB2_85 Depth=2
	s_delay_alu instid0(SALU_CYCLE_1)
	s_or_b32 exec_lo, exec_lo, s19
.LBB2_100:                              ;   in Loop: Header=BB2_85 Depth=2
	s_delay_alu instid0(SALU_CYCLE_1)
	s_or_b32 exec_lo, exec_lo, s10
	s_and_saveexec_b32 s10, s2
	s_cbranch_execz .LBB2_102
; %bb.101:                              ;   in Loop: Header=BB2_85 Depth=2
	v_and_b32_e32 v54, 0x7ffffff8, v16
	v_and_b32_e32 v17, 7, v16
	s_delay_alu instid0(VALU_DEP_2) | instskip(NEXT) | instid1(VALU_DEP_2)
	v_cmp_eq_u64_e32 vcc_lo, 0x7ffffff8, v[54:55]
	v_mad_u64_u32 v[98:99], null, v17, 24, v[14:15]
	v_cndmask_b32_e64 v16, v146, s15, vcc_lo
	s_delay_alu instid0(VALU_DEP_1)
	v_ashrrev_i32_e32 v17, 31, v16
	flat_store_b64 v[98:99], v[16:17] offset:8 dlc
	s_waitcnt_vscnt null, 0x0
.LBB2_102:                              ;   in Loop: Header=BB2_85 Depth=2
	s_or_b32 exec_lo, exec_lo, s10
	v_dual_mov_b32 v16, v18 :: v_dual_mov_b32 v17, v19
.LBB2_103:                              ;   in Loop: Header=BB2_85 Depth=2
	s_or_b32 exec_lo, exec_lo, s9
	s_and_saveexec_b32 s9, s3
	s_cbranch_execz .LBB2_125
; %bb.104:                              ;   in Loop: Header=BB2_85 Depth=2
	s_and_saveexec_b32 s10, s4
	s_delay_alu instid0(SALU_CYCLE_1)
	s_xor_b32 s10, exec_lo, s10
	s_cbranch_execz .LBB2_122
; %bb.105:                              ;   in Loop: Header=BB2_85 Depth=2
	s_and_saveexec_b32 s19, s5
	s_cbranch_execz .LBB2_121
; %bb.106:                              ;   in Loop: Header=BB2_85 Depth=2
	s_mov_b32 s21, exec_lo
	s_mov_b32 s20, exec_lo
	v_mbcnt_lo_u32_b32 v18, s21, 0
	s_waitcnt vmcnt(0) lgkmcnt(0)
	s_waitcnt_vscnt null, 0x0
	buffer_gl1_inv
	buffer_gl0_inv
	v_cmpx_eq_u32_e32 0, v18
	s_cbranch_execz .LBB2_108
; %bb.107:                              ;   in Loop: Header=BB2_85 Depth=2
	s_bcnt1_i32_b32 s21, s21
	s_delay_alu instid0(SALU_CYCLE_1)
	v_mov_b32_e32 v54, s21
	ds_add_u64 v0, v[54:55]
	s_cbranch_execnz .LBB2_282
.LBB2_108:                              ;   in Loop: Header=BB2_85 Depth=2
	s_or_b32 exec_lo, exec_lo, s20
	s_cbranch_execnz .LBB2_276
; %bb.109:                              ;   in Loop: Header=BB2_85 Depth=2
	ds_load_b64 v[18:19], v0
	v_add_co_u32 v2, vcc_lo, v2, v118
	v_add_co_ci_u32_e32 v3, vcc_lo, v3, v69, vcc_lo
	s_mov_b32 s20, exec_lo
	s_waitcnt lgkmcnt(0)
	s_delay_alu instid0(VALU_DEP_1)
	v_cmpx_lt_u64_e64 v[18:19], v[2:3]
	s_cbranch_execz .LBB2_120
; %bb.110:                              ;   in Loop: Header=BB2_85 Depth=2
	s_mov_b32 s21, 0
	s_mov_b32 s24, 0
                                        ; implicit-def: $sgpr22
                                        ; implicit-def: $sgpr23
	s_branch .LBB2_112
.LBB2_111:                              ;   in Loop: Header=BB2_112 Depth=3
	s_or_b32 exec_lo, exec_lo, s27
	s_delay_alu instid0(SALU_CYCLE_1) | instskip(NEXT) | instid1(SALU_CYCLE_1)
	s_and_b32 s25, exec_lo, s26
	s_or_b32 s21, s25, s21
	s_and_not1_b32 s22, s22, exec_lo
	s_and_b32 s25, s23, exec_lo
	s_delay_alu instid0(SALU_CYCLE_1)
	s_or_b32 s22, s22, s25
	s_and_not1_b32 exec_lo, exec_lo, s21
	s_cbranch_execz .LBB2_118
.LBB2_112:                              ;   Parent Loop BB2_32 Depth=1
                                        ;     Parent Loop BB2_85 Depth=2
                                        ; =>    This Inner Loop Header: Depth=3
	s_add_i32 s24, s24, 1
                                        ; implicit-def: $sgpr26
	s_delay_alu instid0(SALU_CYCLE_1) | instskip(SKIP_1) | instid1(SALU_CYCLE_1)
	s_cmpk_lg_i32 s24, 0x2710
	s_cselect_b32 s25, -1, 0
	s_and_b32 vcc_lo, exec_lo, s25
	s_cbranch_vccz .LBB2_116
.LBB2_113:                              ;   in Loop: Header=BB2_112 Depth=3
	s_and_not1_b32 s23, s23, exec_lo
	s_and_b32 s27, s26, exec_lo
	s_mov_b32 s26, -1
	s_or_b32 s23, s23, s27
	s_and_saveexec_b32 s27, s25
	s_cbranch_execz .LBB2_111
; %bb.114:                              ;   in Loop: Header=BB2_112 Depth=3
	s_sleep 1
	s_cbranch_execnz .LBB2_300
; %bb.115:                              ;   in Loop: Header=BB2_112 Depth=3
	ds_load_b64 v[18:19], v0
	s_and_not1_b32 s23, s23, exec_lo
	s_waitcnt lgkmcnt(0)
	v_cmp_ge_u64_e32 vcc_lo, v[18:19], v[2:3]
	s_or_not1_b32 s26, vcc_lo, exec_lo
	s_branch .LBB2_111
.LBB2_116:                              ;   in Loop: Header=BB2_112 Depth=3
	s_cbranch_execnz .LBB2_304
; %bb.117:                              ;   in Loop: Header=BB2_112 Depth=3
	ds_load_b64 v[18:19], v0
	s_and_not1_b32 s25, s25, exec_lo
	s_mov_b32 s24, 0
	s_mov_b32 s26, -1
	s_waitcnt lgkmcnt(0)
	flat_load_b32 v18, v[18:19] glc
	s_waitcnt vmcnt(0) lgkmcnt(0)
	buffer_gl1_inv
	buffer_gl0_inv
	v_cmp_eq_u32_e32 vcc_lo, 0, v18
	s_and_b32 s27, vcc_lo, exec_lo
	s_delay_alu instid0(SALU_CYCLE_1)
	s_or_b32 s25, s25, s27
	s_branch .LBB2_113
.LBB2_118:                              ;   in Loop: Header=BB2_85 Depth=2
	s_or_b32 exec_lo, exec_lo, s21
	s_and_saveexec_b32 s21, s22
	s_delay_alu instid0(SALU_CYCLE_1)
	s_xor_b32 s21, exec_lo, s21
	s_cbranch_execz .LBB2_120
; %bb.119:                              ;   in Loop: Header=BB2_85 Depth=2
	ds_store_b32 v0, v135
	s_cbranch_execnz .LBB2_325
.LBB2_120:                              ;   in Loop: Header=BB2_85 Depth=2
	s_or_b32 exec_lo, exec_lo, s20
	;;#ASMSTART
	s_wakeup
	;;#ASMEND
.LBB2_121:                              ;   in Loop: Header=BB2_85 Depth=2
	s_or_b32 exec_lo, exec_lo, s19
.LBB2_122:                              ;   in Loop: Header=BB2_85 Depth=2
	s_and_not1_saveexec_b32 s10, s10
	s_cbranch_execz .LBB2_124
; %bb.123:                              ;   in Loop: Header=BB2_85 Depth=2
	s_waitcnt vmcnt(0) lgkmcnt(0)
	s_waitcnt_vscnt null, 0x0
	buffer_gl1_inv
	buffer_gl0_inv
	s_barrier
.LBB2_124:                              ;   in Loop: Header=BB2_85 Depth=2
	s_or_b32 exec_lo, exec_lo, s10
.LBB2_125:                              ;   in Loop: Header=BB2_85 Depth=2
	s_delay_alu instid0(SALU_CYCLE_1)
	s_or_b32 exec_lo, exec_lo, s9
	v_mov_b32_e32 v98, v4
	s_and_saveexec_b32 s19, s8
	s_cbranch_execz .LBB2_151
; %bb.126:                              ;   in Loop: Header=BB2_85 Depth=2
	s_waitcnt vmcnt(0) lgkmcnt(0)
	v_ashrrev_i32_e32 v21, 31, v20
	v_mul_lo_u32 v54, v7, v20
	v_mad_u64_u32 v[18:19], null, v6, v20, 0
	v_and_b32_e32 v20, 7, v32
	s_delay_alu instid0(VALU_DEP_4)
	v_mul_lo_u32 v21, v6, v21
	v_and_b32_e32 v98, 7, v102
	v_mov_b32_e32 v114, v102
	v_mov_b32_e32 v164, v145
	v_mul_lo_u32 v20, v20, s13
	s_mov_b32 s20, 0
	v_mul_lo_u32 v98, v98, s13
	v_add3_u32 v19, v19, v21, v54
	v_add_nc_u32_e32 v54, 1, v32
	s_delay_alu instid0(VALU_DEP_4) | instskip(NEXT) | instid1(VALU_DEP_3)
	v_ashrrev_i32_e32 v21, 31, v20
	v_lshlrev_b64 v[18:19], 1, v[18:19]
	v_ashrrev_i32_e32 v99, 31, v98
	s_delay_alu instid0(VALU_DEP_3) | instskip(NEXT) | instid1(VALU_DEP_2)
	v_lshlrev_b64 v[20:21], 4, v[20:21]
	v_lshlrev_b64 v[98:99], 4, v[98:99]
	s_delay_alu instid0(VALU_DEP_4) | instskip(SKIP_1) | instid1(VALU_DEP_4)
	v_add_co_u32 v112, vcc_lo, v147, v18
	v_add_co_ci_u32_e32 v113, vcc_lo, v148, v19, vcc_lo
	v_add_co_u32 v150, vcc_lo, v28, v20
	v_add_co_ci_u32_e32 v151, vcc_lo, v29, v21, vcc_lo
	;; [unrolled: 2-line block ×4, first 2 shown]
	v_mov_b32_e32 v98, v4
	s_branch .LBB2_130
.LBB2_127:                              ;   in Loop: Header=BB2_130 Depth=3
	s_or_b32 exec_lo, exec_lo, s9
.LBB2_128:                              ;   in Loop: Header=BB2_130 Depth=3
	s_delay_alu instid0(SALU_CYCLE_1)
	s_or_b32 exec_lo, exec_lo, s10
.LBB2_129:                              ;   in Loop: Header=BB2_130 Depth=3
	s_delay_alu instid0(SALU_CYCLE_1)
	s_or_b32 exec_lo, exec_lo, s21
	v_lshlrev_b32_e32 v19, 3, v112
	v_lshrrev_b32_e32 v117, 16, v20
	v_add_co_u32 v112, vcc_lo, v112, v84
	v_sub_nc_u32_e32 v164, v164, v70
	s_waitcnt vmcnt(0) lgkmcnt(0)
	v_alignbit_b32 v21, v167, v165, v19
	v_alignbit_b32 v116, v166, v167, v19
	v_add_co_ci_u32_e32 v113, vcc_lo, v113, v85, vcc_lo
	v_or3_b32 v19, 0, 0, v163
	s_delay_alu instid0(VALU_DEP_4) | instskip(NEXT) | instid1(VALU_DEP_4)
	v_lshrrev_b32_e32 v166, 16, v21
	v_lshrrev_b32_e32 v165, 16, v116
	v_mul_f16_e32 v20, v116, v20
	v_mul_f16_e32 v18, v21, v18
	v_add_co_u32 v114, vcc_lo, v160, v114
	s_delay_alu instid0(VALU_DEP_4)
	v_mul_f16_e64 v21, v165, v117
	v_mul_f16_e64 v99, v166, v99
	v_and_b32_e32 v20, 0xffff, v20
	v_and_b32_e32 v18, 0xffff, v18
	v_add_co_ci_u32_e32 v115, vcc_lo, v161, v115, vcc_lo
	v_lshlrev_b32_e32 v21, 16, v21
	v_lshlrev_b32_e32 v99, 16, v99
	v_cmp_gt_i32_e32 vcc_lo, 1, v164
	v_add_nc_u32_e32 v98, v98, v1
	s_delay_alu instid0(VALU_DEP_4)
	v_or3_b32 v20, v21, v20, v162
	v_mov_b32_e32 v21, v19
	v_or3_b32 v18, v99, v18, v162
	s_or_b32 s20, vcc_lo, s20
	global_store_b128 v[114:115], v[18:21], off
	s_and_not1_b32 exec_lo, exec_lo, s20
	s_cbranch_execz .LBB2_150
.LBB2_130:                              ;   Parent Loop BB2_32 Depth=1
                                        ;     Parent Loop BB2_85 Depth=2
                                        ; =>    This Loop Header: Depth=3
                                        ;         Child Loop BB2_138 Depth 4
	v_dual_mov_b32 v19, v113 :: v_dual_and_b32 v18, -4, v112
	v_min_u32_e32 v20, 4, v164
	v_dual_mov_b32 v166, 0 :: v_dual_and_b32 v21, 3, v112
	v_mov_b32_e32 v167, 0
	flat_load_b32 v165, v[18:19] glc
	v_lshlrev_b32_e32 v20, 1, v20
	s_delay_alu instid0(VALU_DEP_1) | instskip(NEXT) | instid1(VALU_DEP_1)
	v_add_co_u32 v20, s9, v21, v20
	v_add_co_ci_u32_e64 v21, null, 0, 0, s9
	s_mov_b32 s9, exec_lo
	s_delay_alu instid0(VALU_DEP_1)
	v_cmpx_lt_u64_e32 4, v[20:21]
	s_cbranch_execz .LBB2_132
; %bb.131:                              ;   in Loop: Header=BB2_130 Depth=3
	flat_load_b32 v167, v[18:19] offset:4 glc
.LBB2_132:                              ;   in Loop: Header=BB2_130 Depth=3
	s_or_b32 exec_lo, exec_lo, s9
	s_delay_alu instid0(SALU_CYCLE_1)
	s_mov_b32 s9, exec_lo
	v_cmpx_lt_u64_e32 8, v[20:21]
	s_cbranch_execz .LBB2_134
; %bb.133:                              ;   in Loop: Header=BB2_130 Depth=3
	flat_load_b32 v166, v[18:19] offset:8 glc
.LBB2_134:                              ;   in Loop: Header=BB2_130 Depth=3
	s_or_b32 exec_lo, exec_lo, s9
	v_ashrrev_i32_e32 v99, 31, v98
	s_delay_alu instid0(VALU_DEP_1) | instskip(NEXT) | instid1(VALU_DEP_1)
	v_lshlrev_b64 v[114:115], 4, v[98:99]
	v_add_co_u32 v116, vcc_lo, v150, v114
	s_delay_alu instid0(VALU_DEP_2)
	v_add_co_ci_u32_e32 v117, vcc_lo, v151, v115, vcc_lo
	;;#ASMSTART
	global_load_b128 v[18:21], v[116:117], off glc slc dlc
s_waitcnt vmcnt(0)

	;;#ASMEND
	v_cmp_eq_u32_e32 vcc_lo, 0, v144
	v_lshrrev_b32_e32 v99, 16, v18
	s_and_saveexec_b32 s21, vcc_lo
	s_cbranch_execz .LBB2_129
; %bb.135:                              ;   in Loop: Header=BB2_130 Depth=3
	v_cmp_ne_u32_e64 s9, v54, v19
	v_cmp_ne_u32_e64 s10, v54, v21
	v_mov_b32_e32 v144, 0
	s_delay_alu instid0(VALU_DEP_2) | instskip(NEXT) | instid1(SALU_CYCLE_1)
	s_or_b32 s9, s9, s10
	s_and_saveexec_b32 s10, s9
	s_cbranch_execz .LBB2_128
; %bb.136:                              ;   in Loop: Header=BB2_130 Depth=3
	v_cndmask_b32_e64 v99, 0, 1, vcc_lo
	s_mov_b32 s22, 0
                                        ; implicit-def: $sgpr23
                                        ; implicit-def: $sgpr24
	s_branch .LBB2_138
.LBB2_137:                              ;   in Loop: Header=BB2_138 Depth=4
	s_or_b32 exec_lo, exec_lo, s25
	s_delay_alu instid0(SALU_CYCLE_1) | instskip(NEXT) | instid1(SALU_CYCLE_1)
	s_and_b32 s9, exec_lo, s9
	s_or_b32 s22, s9, s22
	s_and_not1_b32 s9, s23, exec_lo
	s_and_b32 s23, s24, exec_lo
	s_delay_alu instid0(SALU_CYCLE_1)
	s_or_b32 s23, s9, s23
	s_and_not1_b32 exec_lo, exec_lo, s22
	s_cbranch_execz .LBB2_146
.LBB2_138:                              ;   Parent Loop BB2_32 Depth=1
                                        ;     Parent Loop BB2_85 Depth=2
                                        ;       Parent Loop BB2_130 Depth=3
                                        ; =>      This Inner Loop Header: Depth=4
	s_delay_alu instid0(VALU_DEP_1)
	v_dual_mov_b32 v144, 0 :: v_dual_add_nc_u32 v99, 1, v99
	s_mov_b32 s9, -1
	s_mov_b32 s26, -1
	s_mov_b32 s25, exec_lo
	;;#ASMSTART
	global_load_b128 v[18:21], v[116:117], off glc slc dlc
s_waitcnt vmcnt(0)

	;;#ASMEND
	v_cmpx_eq_u32_e32 0x2710, v99
	s_cbranch_execz .LBB2_144
; %bb.139:                              ;   in Loop: Header=BB2_138 Depth=4
	s_cbranch_execnz .LBB2_251
; %bb.140:                              ;   in Loop: Header=BB2_138 Depth=4
	ds_load_b64 v[176:177], v0
	v_dual_mov_b32 v99, 0 :: v_dual_mov_b32 v144, 0
	s_mov_b32 s27, -1
	s_mov_b32 s26, exec_lo
	s_waitcnt vmcnt(0) lgkmcnt(0)
	s_waitcnt_vscnt null, 0x0
	flat_load_b32 v176, v[176:177] glc
	s_waitcnt vmcnt(0) lgkmcnt(0)
	buffer_gl1_inv
	buffer_gl0_inv
	v_cmpx_ne_u32_e32 0, v176
	s_cbranch_execz .LBB2_143
; %bb.141:                              ;   in Loop: Header=BB2_138 Depth=4
	ds_store_b32 v0, v176
	s_cbranch_execnz .LBB2_259
; %bb.142:                              ;   in Loop: Header=BB2_138 Depth=4
	v_mov_b32_e32 v144, 1
	s_xor_b32 s27, exec_lo, -1
.LBB2_143:                              ;   in Loop: Header=BB2_138 Depth=4
	s_or_b32 exec_lo, exec_lo, s26
	s_delay_alu instid0(SALU_CYCLE_1)
	s_or_not1_b32 s26, s27, exec_lo
.LBB2_144:                              ;   in Loop: Header=BB2_138 Depth=4
	s_or_b32 exec_lo, exec_lo, s25
	s_delay_alu instid0(SALU_CYCLE_1)
	s_or_b32 s24, s24, exec_lo
	s_and_saveexec_b32 s25, s26
	s_cbranch_execz .LBB2_137
; %bb.145:                              ;   in Loop: Header=BB2_138 Depth=4
	v_cmp_eq_u32_e32 vcc_lo, v54, v19
	v_cmp_eq_u32_e64 s9, v54, v21
	s_and_not1_b32 s24, s24, exec_lo
	s_delay_alu instid0(VALU_DEP_1) | instskip(NEXT) | instid1(SALU_CYCLE_1)
	s_and_b32 s9, vcc_lo, s9
	s_or_not1_b32 s9, s9, exec_lo
	s_branch .LBB2_137
.LBB2_146:                              ;   in Loop: Header=BB2_130 Depth=3
	s_or_b32 exec_lo, exec_lo, s22
	s_xor_b32 s9, s23, -1
                                        ; implicit-def: $vgpr99
	s_delay_alu instid0(SALU_CYCLE_1) | instskip(NEXT) | instid1(SALU_CYCLE_1)
	s_and_saveexec_b32 s22, s9
	s_xor_b32 s9, exec_lo, s22
; %bb.147:                              ;   in Loop: Header=BB2_130 Depth=3
	v_lshrrev_b32_e32 v99, 16, v18
; %bb.148:                              ;   in Loop: Header=BB2_130 Depth=3
	s_and_not1_saveexec_b32 s9, s9
	s_cbranch_execz .LBB2_127
; %bb.149:                              ;   in Loop: Header=BB2_130 Depth=3
	v_lshrrev_b32_e32 v99, 16, v18
	s_branch .LBB2_127
.LBB2_150:                              ;   in Loop: Header=BB2_85 Depth=2
	s_or_b32 exec_lo, exec_lo, s20
.LBB2_151:                              ;   in Loop: Header=BB2_85 Depth=2
	s_delay_alu instid0(SALU_CYCLE_1)
	s_or_b32 exec_lo, exec_lo, s19
	s_and_saveexec_b32 s9, s3
	s_cbranch_execz .LBB2_173
; %bb.152:                              ;   in Loop: Header=BB2_85 Depth=2
	s_and_saveexec_b32 s10, s4
	s_delay_alu instid0(SALU_CYCLE_1)
	s_xor_b32 s10, exec_lo, s10
	s_cbranch_execz .LBB2_170
; %bb.153:                              ;   in Loop: Header=BB2_85 Depth=2
	s_and_saveexec_b32 s19, s5
	s_cbranch_execz .LBB2_169
; %bb.154:                              ;   in Loop: Header=BB2_85 Depth=2
	s_mov_b32 s21, exec_lo
	s_mov_b32 s20, exec_lo
	v_mbcnt_lo_u32_b32 v18, s21, 0
	s_waitcnt vmcnt(0) lgkmcnt(0)
	s_waitcnt_vscnt null, 0x0
	buffer_gl1_inv
	buffer_gl0_inv
	v_cmpx_eq_u32_e32 0, v18
	s_cbranch_execz .LBB2_156
; %bb.155:                              ;   in Loop: Header=BB2_85 Depth=2
	s_bcnt1_i32_b32 s21, s21
	s_delay_alu instid0(SALU_CYCLE_1)
	v_mov_b32_e32 v54, s21
	ds_add_u64 v0, v[54:55]
	s_cbranch_execnz .LBB2_294
.LBB2_156:                              ;   in Loop: Header=BB2_85 Depth=2
	s_or_b32 exec_lo, exec_lo, s20
	s_cbranch_execnz .LBB2_286
; %bb.157:                              ;   in Loop: Header=BB2_85 Depth=2
	ds_load_b64 v[18:19], v0
	v_add_co_u32 v2, vcc_lo, v2, v118
	v_add_co_ci_u32_e32 v3, vcc_lo, v3, v69, vcc_lo
	s_mov_b32 s20, exec_lo
	s_waitcnt lgkmcnt(0)
	s_delay_alu instid0(VALU_DEP_1)
	v_cmpx_lt_u64_e64 v[18:19], v[2:3]
	s_cbranch_execz .LBB2_168
; %bb.158:                              ;   in Loop: Header=BB2_85 Depth=2
	s_mov_b32 s21, 0
	s_mov_b32 s24, 0
                                        ; implicit-def: $sgpr22
                                        ; implicit-def: $sgpr23
	s_branch .LBB2_160
.LBB2_159:                              ;   in Loop: Header=BB2_160 Depth=3
	s_or_b32 exec_lo, exec_lo, s27
	s_delay_alu instid0(SALU_CYCLE_1) | instskip(NEXT) | instid1(SALU_CYCLE_1)
	s_and_b32 s25, exec_lo, s26
	s_or_b32 s21, s25, s21
	s_and_not1_b32 s22, s22, exec_lo
	s_and_b32 s25, s23, exec_lo
	s_delay_alu instid0(SALU_CYCLE_1)
	s_or_b32 s22, s22, s25
	s_and_not1_b32 exec_lo, exec_lo, s21
	s_cbranch_execz .LBB2_166
.LBB2_160:                              ;   Parent Loop BB2_32 Depth=1
                                        ;     Parent Loop BB2_85 Depth=2
                                        ; =>    This Inner Loop Header: Depth=3
	s_add_i32 s24, s24, 1
                                        ; implicit-def: $sgpr26
	s_delay_alu instid0(SALU_CYCLE_1) | instskip(SKIP_1) | instid1(SALU_CYCLE_1)
	s_cmpk_lg_i32 s24, 0x2710
	s_cselect_b32 s25, -1, 0
	s_and_b32 vcc_lo, exec_lo, s25
	s_cbranch_vccz .LBB2_164
.LBB2_161:                              ;   in Loop: Header=BB2_160 Depth=3
	s_and_not1_b32 s23, s23, exec_lo
	s_and_b32 s27, s26, exec_lo
	s_mov_b32 s26, -1
	s_or_b32 s23, s23, s27
	s_and_saveexec_b32 s27, s25
	s_cbranch_execz .LBB2_159
; %bb.162:                              ;   in Loop: Header=BB2_160 Depth=3
	s_sleep 1
	s_cbranch_execnz .LBB2_306
; %bb.163:                              ;   in Loop: Header=BB2_160 Depth=3
	ds_load_b64 v[18:19], v0
	s_and_not1_b32 s23, s23, exec_lo
	s_waitcnt lgkmcnt(0)
	v_cmp_ge_u64_e32 vcc_lo, v[18:19], v[2:3]
	s_or_not1_b32 s26, vcc_lo, exec_lo
	s_branch .LBB2_159
.LBB2_164:                              ;   in Loop: Header=BB2_160 Depth=3
	s_cbranch_execnz .LBB2_308
; %bb.165:                              ;   in Loop: Header=BB2_160 Depth=3
	ds_load_b64 v[18:19], v0
	s_and_not1_b32 s25, s25, exec_lo
	s_mov_b32 s24, 0
	s_mov_b32 s26, -1
	s_waitcnt lgkmcnt(0)
	flat_load_b32 v18, v[18:19] glc
	s_waitcnt vmcnt(0) lgkmcnt(0)
	buffer_gl1_inv
	buffer_gl0_inv
	v_cmp_eq_u32_e32 vcc_lo, 0, v18
	s_and_b32 s27, vcc_lo, exec_lo
	s_delay_alu instid0(SALU_CYCLE_1)
	s_or_b32 s25, s25, s27
	s_branch .LBB2_161
.LBB2_166:                              ;   in Loop: Header=BB2_85 Depth=2
	s_or_b32 exec_lo, exec_lo, s21
	s_and_saveexec_b32 s21, s22
	s_delay_alu instid0(SALU_CYCLE_1)
	s_xor_b32 s21, exec_lo, s21
	s_cbranch_execz .LBB2_168
; %bb.167:                              ;   in Loop: Header=BB2_85 Depth=2
	ds_store_b32 v0, v135
	s_cbranch_execnz .LBB2_327
.LBB2_168:                              ;   in Loop: Header=BB2_85 Depth=2
	s_or_b32 exec_lo, exec_lo, s20
	;;#ASMSTART
	s_wakeup
	;;#ASMEND
.LBB2_169:                              ;   in Loop: Header=BB2_85 Depth=2
	s_or_b32 exec_lo, exec_lo, s19
.LBB2_170:                              ;   in Loop: Header=BB2_85 Depth=2
	s_and_not1_saveexec_b32 s10, s10
	s_cbranch_execz .LBB2_172
; %bb.171:                              ;   in Loop: Header=BB2_85 Depth=2
	s_waitcnt vmcnt(0) lgkmcnt(0)
	s_waitcnt_vscnt null, 0x0
	buffer_gl1_inv
	buffer_gl0_inv
	s_barrier
.LBB2_172:                              ;   in Loop: Header=BB2_85 Depth=2
	s_or_b32 exec_lo, exec_lo, s10
.LBB2_173:                              ;   in Loop: Header=BB2_85 Depth=2
	s_delay_alu instid0(SALU_CYCLE_1)
	s_or_b32 exec_lo, exec_lo, s9
	s_and_saveexec_b32 s9, s6
	s_cbranch_execz .LBB2_175
; %bb.174:                              ;   in Loop: Header=BB2_85 Depth=2
	v_add_co_u32 v48, vcc_lo, v48, 1
	v_add_co_ci_u32_e32 v49, vcc_lo, 0, v49, vcc_lo
	s_waitcnt vmcnt(0) lgkmcnt(0)
	s_waitcnt_vscnt null, 0x0
	flat_store_b64 v[36:37], v[48:49]
.LBB2_175:                              ;   in Loop: Header=BB2_85 Depth=2
	s_or_b32 exec_lo, exec_lo, s9
	v_and_b32_e32 v54, 0x7ffffff8, v102
	v_cmp_gt_i32_e64 s9, s13, v98
	s_delay_alu instid0(VALU_DEP_2) | instskip(NEXT) | instid1(VALU_DEP_2)
	v_cmp_eq_u64_e32 vcc_lo, 0x7ffffff8, v[54:55]
	s_and_b32 s9, vcc_lo, s9
	s_delay_alu instid0(SALU_CYCLE_1)
	s_and_saveexec_b32 s10, s9
	s_cbranch_execz .LBB2_178
; %bb.176:                              ;   in Loop: Header=BB2_85 Depth=2
	v_and_b32_e32 v18, 7, v149
	v_ashrrev_i32_e32 v99, 31, v98
	v_mov_b32_e32 v54, v102
	s_mov_b32 s19, 0
	s_delay_alu instid0(VALU_DEP_3) | instskip(SKIP_2) | instid1(VALU_DEP_2)
	v_mul_lo_u32 v18, s13, v18
	s_waitcnt vmcnt(0) lgkmcnt(0)
	v_lshlrev_b64 v[20:21], 4, v[98:99]
	v_ashrrev_i32_e32 v19, 31, v18
	s_delay_alu instid0(VALU_DEP_1) | instskip(NEXT) | instid1(VALU_DEP_1)
	v_lshlrev_b64 v[18:19], 4, v[18:19]
	v_add_co_u32 v20, vcc_lo, v20, v18
	s_delay_alu instid0(VALU_DEP_2) | instskip(SKIP_2) | instid1(VALU_DEP_4)
	v_add_co_ci_u32_e32 v21, vcc_lo, v21, v19, vcc_lo
	v_add_co_u32 v18, vcc_lo, 0, 0
	v_add_co_ci_u32_e32 v19, vcc_lo, 1, v54, vcc_lo
	v_add_co_u32 v112, vcc_lo, v38, v20
	s_delay_alu instid0(VALU_DEP_4)
	v_add_co_ci_u32_e32 v113, vcc_lo, v39, v21, vcc_lo
.LBB2_177:                              ;   Parent Loop BB2_32 Depth=1
                                        ;     Parent Loop BB2_85 Depth=2
                                        ; =>    This Inner Loop Header: Depth=3
	s_delay_alu instid0(VALU_DEP_3) | instskip(SKIP_4) | instid1(VALU_DEP_1)
	v_dual_mov_b32 v20, v18 :: v_dual_mov_b32 v21, v19
	v_add_nc_u32_e32 v98, v98, v1
	global_store_b128 v[112:113], v[18:21], off
	v_cmp_le_i32_e32 vcc_lo, s13, v98
	v_add_co_u32 v112, s9, v112, v96
	v_add_co_ci_u32_e64 v113, s9, v113, v97, s9
	s_or_b32 s19, vcc_lo, s19
	s_delay_alu instid0(SALU_CYCLE_1)
	s_and_not1_b32 exec_lo, exec_lo, s19
	s_cbranch_execnz .LBB2_177
.LBB2_178:                              ;   in Loop: Header=BB2_85 Depth=2
	s_or_b32 exec_lo, exec_lo, s10
	v_add_co_u32 v32, vcc_lo, v32, 1
	v_add_co_ci_u32_e32 v33, vcc_lo, 0, v33, vcc_lo
	v_add_co_u32 v102, vcc_lo, v102, 1
	v_add_co_ci_u32_e32 v103, vcc_lo, 0, v103, vcc_lo
	v_add_nc_u16 v149, v149, 1
	s_add_i32 s18, s18, 1
	s_delay_alu instid0(SALU_CYCLE_1)
	s_cmp_eq_u32 s18, s14
	s_cbranch_scc0 .LBB2_85
.LBB2_179:                              ;   in Loop: Header=BB2_32 Depth=1
	s_delay_alu instid0(VALU_DEP_1)
	v_dual_mov_b32 v98, v102 :: v_dual_mov_b32 v99, v103
	s_and_saveexec_b32 s10, s8
	s_cbranch_execz .LBB2_211
; %bb.180:                              ;   in Loop: Header=BB2_32 Depth=1
	s_waitcnt vmcnt(0) lgkmcnt(0)
	flat_load_b32 v20, v[22:23]
	v_and_b32_e32 v54, 7, v32
	s_mov_b32 s18, 0
	s_delay_alu instid0(VALU_DEP_1)
	v_mul_lo_u32 v102, v54, s13
	v_add_nc_u32_e32 v54, 1, v32
	s_waitcnt vmcnt(0) lgkmcnt(0)
	v_ashrrev_i32_e32 v21, 31, v20
	v_mul_lo_u32 v103, v7, v20
	v_mad_u64_u32 v[18:19], null, v6, v20, 0
	s_delay_alu instid0(VALU_DEP_3) | instskip(SKIP_1) | instid1(VALU_DEP_2)
	v_mul_lo_u32 v112, v6, v21
	v_lshlrev_b64 v[20:21], 1, v[100:101]
	v_add3_u32 v19, v19, v112, v103
	s_delay_alu instid0(VALU_DEP_2) | instskip(SKIP_1) | instid1(VALU_DEP_4)
	v_add_co_u32 v112, vcc_lo, v12, v20
	v_ashrrev_i32_e32 v103, 31, v102
	v_add_co_ci_u32_e32 v113, vcc_lo, v13, v21, vcc_lo
	s_delay_alu instid0(VALU_DEP_4) | instskip(SKIP_3) | instid1(VALU_DEP_4)
	v_lshlrev_b64 v[18:19], 1, v[18:19]
	v_add_co_u32 v100, vcc_lo, v129, v20
	v_add_co_ci_u32_e32 v101, vcc_lo, v130, v21, vcc_lo
	v_lshlrev_b64 v[20:21], 4, v[102:103]
	v_add_co_u32 v18, vcc_lo, v112, v18
	v_add_co_ci_u32_e32 v19, vcc_lo, v113, v19, vcc_lo
	v_mov_b32_e32 v102, v4
	s_delay_alu instid0(VALU_DEP_4)
	v_add_co_u32 v114, vcc_lo, v28, v20
	v_add_co_ci_u32_e32 v115, vcc_lo, v29, v21, vcc_lo
	v_add_co_u32 v116, vcc_lo, v18, v80
	v_add_co_ci_u32_e32 v117, vcc_lo, v19, v81, vcc_lo
	s_branch .LBB2_182
.LBB2_181:                              ;   in Loop: Header=BB2_182 Depth=2
	v_sub_nc_u32_e32 v145, v145, v70
	v_add_co_u32 v116, vcc_lo, v116, v84
	v_add_co_ci_u32_e32 v117, vcc_lo, v117, v85, vcc_lo
	s_delay_alu instid0(VALU_DEP_3) | instskip(SKIP_1) | instid1(VALU_DEP_1)
	v_cmp_gt_i32_e32 vcc_lo, 1, v145
	v_add_co_u32 v100, s8, v100, v84
	v_add_co_ci_u32_e64 v101, s8, v101, v85, s8
	v_add_nc_u32_e32 v102, v102, v1
	s_or_b32 s18, vcc_lo, s18
	s_delay_alu instid0(SALU_CYCLE_1)
	s_and_not1_b32 exec_lo, exec_lo, s18
	s_cbranch_execz .LBB2_210
.LBB2_182:                              ;   Parent Loop BB2_32 Depth=1
                                        ; =>  This Loop Header: Depth=2
                                        ;       Child Loop BB2_190 Depth 3
	s_delay_alu instid0(VALU_DEP_1)
	v_dual_mov_b32 v19, v117 :: v_dual_and_b32 v18, -4, v116
	v_min_u32_e32 v20, 4, v145
	v_dual_mov_b32 v148, 0 :: v_dual_and_b32 v21, 3, v116
	v_mov_b32_e32 v147, 0
	flat_load_b32 v146, v[18:19] glc
	v_lshlrev_b32_e32 v20, 1, v20
	s_delay_alu instid0(VALU_DEP_1) | instskip(NEXT) | instid1(VALU_DEP_1)
	v_add_co_u32 v20, s8, v21, v20
	v_add_co_ci_u32_e64 v21, null, 0, 0, s8
	s_mov_b32 s8, exec_lo
	s_delay_alu instid0(VALU_DEP_1)
	v_cmpx_lt_u64_e32 4, v[20:21]
	s_cbranch_execz .LBB2_184
; %bb.183:                              ;   in Loop: Header=BB2_182 Depth=2
	flat_load_b32 v148, v[18:19] offset:4 glc
.LBB2_184:                              ;   in Loop: Header=BB2_182 Depth=2
	s_or_b32 exec_lo, exec_lo, s8
	s_delay_alu instid0(SALU_CYCLE_1)
	s_mov_b32 s8, exec_lo
	v_cmpx_lt_u64_e32 8, v[20:21]
	s_cbranch_execz .LBB2_186
; %bb.185:                              ;   in Loop: Header=BB2_182 Depth=2
	flat_load_b32 v147, v[18:19] offset:8 glc
.LBB2_186:                              ;   in Loop: Header=BB2_182 Depth=2
	s_or_b32 exec_lo, exec_lo, s8
	v_ashrrev_i32_e32 v103, 31, v102
	s_delay_alu instid0(VALU_DEP_1) | instskip(NEXT) | instid1(VALU_DEP_1)
	v_lshlrev_b64 v[18:19], 4, v[102:103]
	v_add_co_u32 v112, vcc_lo, v114, v18
	s_delay_alu instid0(VALU_DEP_2)
	v_add_co_ci_u32_e32 v113, vcc_lo, v115, v19, vcc_lo
	;;#ASMSTART
	global_load_b128 v[18:21], v[112:113], off glc slc dlc
s_waitcnt vmcnt(0)

	;;#ASMEND
	v_cmp_eq_u32_e32 vcc_lo, 0, v144
	v_lshrrev_b32_e32 v103, 16, v18
	s_and_saveexec_b32 s19, vcc_lo
	s_cbranch_execz .LBB2_200
; %bb.187:                              ;   in Loop: Header=BB2_182 Depth=2
	v_cmp_ne_u32_e64 s8, v54, v19
	v_cmp_ne_u32_e64 s9, v54, v21
	v_mov_b32_e32 v144, 0
	s_delay_alu instid0(VALU_DEP_2) | instskip(NEXT) | instid1(SALU_CYCLE_1)
	s_or_b32 s8, s8, s9
	s_and_saveexec_b32 s9, s8
	s_cbranch_execz .LBB2_199
; %bb.188:                              ;   in Loop: Header=BB2_182 Depth=2
	v_cndmask_b32_e64 v103, 0, 1, vcc_lo
	s_mov_b32 s20, 0
                                        ; implicit-def: $sgpr21
                                        ; implicit-def: $sgpr22
	s_branch .LBB2_190
.LBB2_189:                              ;   in Loop: Header=BB2_190 Depth=3
	s_or_b32 exec_lo, exec_lo, s23
	s_delay_alu instid0(SALU_CYCLE_1) | instskip(NEXT) | instid1(SALU_CYCLE_1)
	s_and_b32 s8, exec_lo, s8
	s_or_b32 s20, s8, s20
	s_and_not1_b32 s8, s21, exec_lo
	s_and_b32 s21, s22, exec_lo
	s_delay_alu instid0(SALU_CYCLE_1)
	s_or_b32 s21, s8, s21
	s_and_not1_b32 exec_lo, exec_lo, s20
	s_cbranch_execz .LBB2_198
.LBB2_190:                              ;   Parent Loop BB2_32 Depth=1
                                        ;     Parent Loop BB2_182 Depth=2
                                        ; =>    This Inner Loop Header: Depth=3
	s_delay_alu instid0(VALU_DEP_1)
	v_dual_mov_b32 v144, 0 :: v_dual_add_nc_u32 v103, 1, v103
	s_mov_b32 s8, -1
	s_mov_b32 s24, -1
	s_mov_b32 s23, exec_lo
	;;#ASMSTART
	global_load_b128 v[18:21], v[112:113], off glc slc dlc
s_waitcnt vmcnt(0)

	;;#ASMEND
	v_cmpx_eq_u32_e32 0x2710, v103
	s_cbranch_execz .LBB2_196
; %bb.191:                              ;   in Loop: Header=BB2_190 Depth=3
	s_cbranch_execnz .LBB2_253
; %bb.192:                              ;   in Loop: Header=BB2_190 Depth=3
	ds_load_b64 v[149:150], v0
	v_dual_mov_b32 v103, 0 :: v_dual_mov_b32 v144, 0
	s_mov_b32 s25, -1
	s_mov_b32 s24, exec_lo
	s_waitcnt vmcnt(0) lgkmcnt(0)
	s_waitcnt_vscnt null, 0x0
	flat_load_b32 v149, v[149:150] glc
	s_waitcnt vmcnt(0) lgkmcnt(0)
	buffer_gl1_inv
	buffer_gl0_inv
	v_cmpx_ne_u32_e32 0, v149
	s_cbranch_execz .LBB2_195
; %bb.193:                              ;   in Loop: Header=BB2_190 Depth=3
	ds_store_b32 v0, v149
	s_cbranch_execnz .LBB2_265
; %bb.194:                              ;   in Loop: Header=BB2_190 Depth=3
	v_mov_b32_e32 v144, 1
	s_xor_b32 s25, exec_lo, -1
.LBB2_195:                              ;   in Loop: Header=BB2_190 Depth=3
	s_or_b32 exec_lo, exec_lo, s24
	s_delay_alu instid0(SALU_CYCLE_1)
	s_or_not1_b32 s24, s25, exec_lo
.LBB2_196:                              ;   in Loop: Header=BB2_190 Depth=3
	s_or_b32 exec_lo, exec_lo, s23
	s_delay_alu instid0(SALU_CYCLE_1)
	s_or_b32 s22, s22, exec_lo
	s_and_saveexec_b32 s23, s24
	s_cbranch_execz .LBB2_189
; %bb.197:                              ;   in Loop: Header=BB2_190 Depth=3
	v_cmp_eq_u32_e32 vcc_lo, v54, v19
	v_cmp_eq_u32_e64 s8, v54, v21
	s_and_not1_b32 s22, s22, exec_lo
	s_delay_alu instid0(VALU_DEP_1) | instskip(NEXT) | instid1(SALU_CYCLE_1)
	s_and_b32 s8, vcc_lo, s8
	s_or_not1_b32 s8, s8, exec_lo
	s_branch .LBB2_189
.LBB2_198:                              ;   in Loop: Header=BB2_182 Depth=2
	s_or_b32 exec_lo, exec_lo, s20
	v_lshrrev_b32_e32 v103, 16, v18
	s_xor_b32 s8, s21, -1
	s_delay_alu instid0(SALU_CYCLE_1) | instskip(NEXT) | instid1(SALU_CYCLE_1)
	s_and_saveexec_b32 s20, s8
	s_xor_b32 s8, exec_lo, s20
	s_delay_alu instid0(SALU_CYCLE_1) | instskip(NEXT) | instid1(SALU_CYCLE_1)
	s_and_not1_saveexec_b32 s8, s8
	s_or_b32 exec_lo, exec_lo, s8
.LBB2_199:                              ;   in Loop: Header=BB2_182 Depth=2
	s_delay_alu instid0(SALU_CYCLE_1)
	s_or_b32 exec_lo, exec_lo, s9
.LBB2_200:                              ;   in Loop: Header=BB2_182 Depth=2
	s_delay_alu instid0(SALU_CYCLE_1) | instskip(SKIP_4) | instid1(VALU_DEP_3)
	s_or_b32 exec_lo, exec_lo, s19
	v_lshlrev_b32_e32 v19, 3, v116
	v_cmp_lt_u32_e32 vcc_lo, 3, v145
	v_lshrrev_b32_e32 v113, 16, v20
	s_waitcnt vmcnt(0) lgkmcnt(0)
	v_alignbit_b32 v21, v148, v146, v19
	v_alignbit_b32 v19, v147, v148, v19
	s_and_b32 s8, s7, vcc_lo
	s_delay_alu instid0(SALU_CYCLE_1) | instskip(NEXT) | instid1(VALU_DEP_3)
	v_cndmask_b32_e64 v112, 0, 1, s8
	v_lshrrev_b32_e32 v146, 16, v21
	s_delay_alu instid0(VALU_DEP_3) | instskip(SKIP_1) | instid1(VALU_DEP_3)
	v_lshrrev_b32_e32 v147, 16, v19
	;;#ASMSTART
	;;#ASMEND
	v_cmp_ne_u32_e64 s8, 0, v112
	v_mul_f16_e32 v18, v21, v18
	v_mul_f16_e32 v19, v19, v20
	v_mul_f16_e64 v20, v146, v103
	v_mul_f16_e64 v21, v147, v113
	s_cmp_lg_u32 s8, exec_lo
	s_mov_b32 s8, -1
	s_cbranch_scc0 .LBB2_208
; %bb.201:                              ;   in Loop: Header=BB2_182 Depth=2
	s_mov_b32 s9, exec_lo
	flat_store_b16 v[100:101], v18
	v_cmpx_ne_u32_e32 1, v145
	s_cbranch_execz .LBB2_203
; %bb.202:                              ;   in Loop: Header=BB2_182 Depth=2
	flat_store_b16 v[100:101], v20 offset:2
.LBB2_203:                              ;   in Loop: Header=BB2_182 Depth=2
	s_or_b32 exec_lo, exec_lo, s9
	s_delay_alu instid0(SALU_CYCLE_1)
	s_mov_b32 s9, exec_lo
	v_cmpx_lt_u32_e32 2, v145
	s_cbranch_execz .LBB2_205
; %bb.204:                              ;   in Loop: Header=BB2_182 Depth=2
	flat_store_b16 v[100:101], v19 offset:4
.LBB2_205:                              ;   in Loop: Header=BB2_182 Depth=2
	s_or_b32 exec_lo, exec_lo, s9
	s_and_saveexec_b32 s8, vcc_lo
	s_cbranch_execz .LBB2_207
; %bb.206:                              ;   in Loop: Header=BB2_182 Depth=2
	flat_store_b16 v[100:101], v21 offset:6
.LBB2_207:                              ;   in Loop: Header=BB2_182 Depth=2
	s_or_b32 exec_lo, exec_lo, s8
	s_mov_b32 s8, 0
.LBB2_208:                              ;   in Loop: Header=BB2_182 Depth=2
	s_delay_alu instid0(SALU_CYCLE_1)
	s_and_b32 vcc_lo, exec_lo, s8
	s_cbranch_vccz .LBB2_181
; %bb.209:                              ;   in Loop: Header=BB2_182 Depth=2
	v_lshlrev_b32_e32 v20, 16, v20
	v_lshlrev_b32_e32 v21, 16, v21
	v_and_b32_e32 v19, 0xffff, v19
	v_and_b32_e32 v18, 0xffff, v18
	s_delay_alu instid0(VALU_DEP_2) | instskip(NEXT) | instid1(VALU_DEP_2)
	v_or3_b32 v19, v21, v19, 0
	v_or_b32_e32 v18, v18, v20
	global_store_b64 v[100:101], v[18:19], off
	s_branch .LBB2_181
.LBB2_210:                              ;   in Loop: Header=BB2_32 Depth=1
	s_or_b32 exec_lo, exec_lo, s18
.LBB2_211:                              ;   in Loop: Header=BB2_32 Depth=1
	s_delay_alu instid0(SALU_CYCLE_1)
	s_or_b32 exec_lo, exec_lo, s10
	s_and_saveexec_b32 s8, s3
	s_cbranch_execz .LBB2_233
; %bb.212:                              ;   in Loop: Header=BB2_32 Depth=1
	s_and_saveexec_b32 s9, s4
	s_delay_alu instid0(SALU_CYCLE_1)
	s_xor_b32 s9, exec_lo, s9
	s_cbranch_execz .LBB2_230
; %bb.213:                              ;   in Loop: Header=BB2_32 Depth=1
	s_and_saveexec_b32 s10, s5
	s_cbranch_execz .LBB2_229
; %bb.214:                              ;   in Loop: Header=BB2_32 Depth=1
	s_mov_b32 s19, exec_lo
	s_mov_b32 s18, exec_lo
	v_mbcnt_lo_u32_b32 v18, s19, 0
	s_waitcnt vmcnt(0) lgkmcnt(0)
	s_waitcnt_vscnt null, 0x0
	buffer_gl1_inv
	buffer_gl0_inv
	v_cmpx_eq_u32_e32 0, v18
	s_cbranch_execz .LBB2_216
; %bb.215:                              ;   in Loop: Header=BB2_32 Depth=1
	s_bcnt1_i32_b32 s19, s19
	s_delay_alu instid0(SALU_CYCLE_1)
	v_mov_b32_e32 v54, s19
	ds_add_u64 v0, v[54:55]
	s_cbranch_execnz .LBB2_302
.LBB2_216:                              ;   in Loop: Header=BB2_32 Depth=1
	s_or_b32 exec_lo, exec_lo, s18
	s_cbranch_execnz .LBB2_290
; %bb.217:                              ;   in Loop: Header=BB2_32 Depth=1
	ds_load_b64 v[18:19], v0
	v_add_co_u32 v2, vcc_lo, v2, v118
	v_add_co_ci_u32_e32 v3, vcc_lo, v3, v69, vcc_lo
	s_mov_b32 s18, exec_lo
	s_waitcnt lgkmcnt(0)
	s_delay_alu instid0(VALU_DEP_1)
	v_cmpx_lt_u64_e64 v[18:19], v[2:3]
	s_cbranch_execz .LBB2_228
; %bb.218:                              ;   in Loop: Header=BB2_32 Depth=1
	s_mov_b32 s19, 0
	s_mov_b32 s22, 0
                                        ; implicit-def: $sgpr20
                                        ; implicit-def: $sgpr21
	s_branch .LBB2_220
.LBB2_219:                              ;   in Loop: Header=BB2_220 Depth=2
	s_or_b32 exec_lo, exec_lo, s25
	s_delay_alu instid0(SALU_CYCLE_1) | instskip(NEXT) | instid1(SALU_CYCLE_1)
	s_and_b32 s23, exec_lo, s24
	s_or_b32 s19, s23, s19
	s_and_not1_b32 s20, s20, exec_lo
	s_and_b32 s23, s21, exec_lo
	s_delay_alu instid0(SALU_CYCLE_1)
	s_or_b32 s20, s20, s23
	s_and_not1_b32 exec_lo, exec_lo, s19
	s_cbranch_execz .LBB2_226
.LBB2_220:                              ;   Parent Loop BB2_32 Depth=1
                                        ; =>  This Inner Loop Header: Depth=2
	s_add_i32 s22, s22, 1
                                        ; implicit-def: $sgpr24
	s_delay_alu instid0(SALU_CYCLE_1) | instskip(SKIP_1) | instid1(SALU_CYCLE_1)
	s_cmpk_lg_i32 s22, 0x2710
	s_cselect_b32 s23, -1, 0
	s_and_b32 vcc_lo, exec_lo, s23
	s_cbranch_vccz .LBB2_224
.LBB2_221:                              ;   in Loop: Header=BB2_220 Depth=2
	s_and_not1_b32 s21, s21, exec_lo
	s_and_b32 s25, s24, exec_lo
	s_mov_b32 s24, -1
	s_or_b32 s21, s21, s25
	s_and_saveexec_b32 s25, s23
	s_cbranch_execz .LBB2_219
; %bb.222:                              ;   in Loop: Header=BB2_220 Depth=2
	s_sleep 1
	s_cbranch_execnz .LBB2_310
; %bb.223:                              ;   in Loop: Header=BB2_220 Depth=2
	ds_load_b64 v[18:19], v0
	s_and_not1_b32 s21, s21, exec_lo
	s_waitcnt lgkmcnt(0)
	v_cmp_ge_u64_e32 vcc_lo, v[18:19], v[2:3]
	s_or_not1_b32 s24, vcc_lo, exec_lo
	s_branch .LBB2_219
.LBB2_224:                              ;   in Loop: Header=BB2_220 Depth=2
	s_cbranch_execnz .LBB2_312
; %bb.225:                              ;   in Loop: Header=BB2_220 Depth=2
	ds_load_b64 v[18:19], v0
	s_and_not1_b32 s23, s23, exec_lo
	s_mov_b32 s22, 0
	s_mov_b32 s24, -1
	s_waitcnt lgkmcnt(0)
	flat_load_b32 v18, v[18:19] glc
	s_waitcnt vmcnt(0) lgkmcnt(0)
	buffer_gl1_inv
	buffer_gl0_inv
	v_cmp_eq_u32_e32 vcc_lo, 0, v18
	s_and_b32 s25, vcc_lo, exec_lo
	s_delay_alu instid0(SALU_CYCLE_1)
	s_or_b32 s23, s23, s25
	s_branch .LBB2_221
.LBB2_226:                              ;   in Loop: Header=BB2_32 Depth=1
	s_or_b32 exec_lo, exec_lo, s19
	s_and_saveexec_b32 s19, s20
	s_delay_alu instid0(SALU_CYCLE_1)
	s_xor_b32 s19, exec_lo, s19
	s_cbranch_execz .LBB2_228
; %bb.227:                              ;   in Loop: Header=BB2_32 Depth=1
	ds_store_b32 v0, v135
	s_cbranch_execnz .LBB2_329
.LBB2_228:                              ;   in Loop: Header=BB2_32 Depth=1
	s_or_b32 exec_lo, exec_lo, s18
	;;#ASMSTART
	s_wakeup
	;;#ASMEND
.LBB2_229:                              ;   in Loop: Header=BB2_32 Depth=1
	s_or_b32 exec_lo, exec_lo, s10
.LBB2_230:                              ;   in Loop: Header=BB2_32 Depth=1
	s_and_not1_saveexec_b32 s9, s9
	s_cbranch_execz .LBB2_232
; %bb.231:                              ;   in Loop: Header=BB2_32 Depth=1
	s_waitcnt vmcnt(0) lgkmcnt(0)
	s_waitcnt_vscnt null, 0x0
	buffer_gl1_inv
	buffer_gl0_inv
	s_barrier
.LBB2_232:                              ;   in Loop: Header=BB2_32 Depth=1
	s_or_b32 exec_lo, exec_lo, s9
.LBB2_233:                              ;   in Loop: Header=BB2_32 Depth=1
	s_delay_alu instid0(SALU_CYCLE_1)
	s_or_b32 exec_lo, exec_lo, s8
	s_and_saveexec_b32 s8, s6
	s_cbranch_execz .LBB2_235
; %bb.234:                              ;   in Loop: Header=BB2_32 Depth=1
	v_add_co_u32 v48, vcc_lo, v48, 1
	v_add_co_ci_u32_e32 v49, vcc_lo, 0, v49, vcc_lo
	s_waitcnt vmcnt(0) lgkmcnt(0)
	s_waitcnt_vscnt null, 0x0
	flat_store_b64 v[36:37], v[48:49]
.LBB2_235:                              ;   in Loop: Header=BB2_32 Depth=1
	s_or_b32 exec_lo, exec_lo, s8
	v_add_co_u32 v86, vcc_lo, v86, v64
	v_add_co_ci_u32_e32 v87, vcc_lo, 0, v87, vcc_lo
	v_add_co_u32 v32, vcc_lo, v32, 1
	v_add_co_ci_u32_e32 v33, vcc_lo, 0, v33, vcc_lo
	s_delay_alu instid0(VALU_DEP_3) | instskip(SKIP_1) | instid1(VALU_DEP_1)
	v_cmp_ge_u64_e32 vcc_lo, v[86:87], v[8:9]
	v_add_co_u32 v10, s8, v10, v131
	v_add_co_ci_u32_e64 v11, s8, 0, v11, s8
	v_add_nc_u32_e32 v0, v0, v5
	s_or_b32 s16, vcc_lo, s16
	s_delay_alu instid0(SALU_CYCLE_1)
	s_and_not1_b32 exec_lo, exec_lo, s16
	s_cbranch_execnz .LBB2_32
; %bb.236:
	s_or_b32 exec_lo, exec_lo, s16
.LBB2_237:
	s_delay_alu instid0(SALU_CYCLE_1)
	s_or_b32 exec_lo, exec_lo, s12
	s_and_saveexec_b32 s1, s11
	s_cbranch_execz .LBB2_239
; %bb.238:
	s_waitcnt lgkmcnt(0)
	flat_store_b64 v[26:27], v[48:49] offset:104
.LBB2_239:
	s_or_b32 exec_lo, exec_lo, s1
	s_and_saveexec_b32 s1, s0
	s_cbranch_execz .LBB2_241
; %bb.240:
	s_waitcnt lgkmcnt(0)
	flat_store_b64 v[34:35], v[16:17] offset:104
.LBB2_241:
	s_or_b32 exec_lo, exec_lo, s1
	s_delay_alu instid0(SALU_CYCLE_1)
	s_mov_b32 s0, exec_lo
	v_cmpx_ne_u32_e32 32, v1
	s_cbranch_execz .LBB2_320
; %bb.242:
	s_mov_b32 s1, exec_lo
	v_cmpx_ne_u32_e64 v30, v1
	s_xor_b32 s1, exec_lo, s1
	s_cbranch_execz .LBB2_318
; %bb.243:
	v_and_b32_e32 v0, 31, v31
	s_mov_b32 s2, exec_lo
	s_delay_alu instid0(VALU_DEP_1)
	v_cmpx_eq_u32_e32 0, v0
	s_cbranch_execz .LBB2_317
; %bb.244:
	s_mov_b32 s4, exec_lo
	s_mov_b32 s3, exec_lo
	v_mbcnt_lo_u32_b32 v0, s4, 0
	s_waitcnt vmcnt(0) lgkmcnt(0)
	s_waitcnt_vscnt null, 0x0
	buffer_gl1_inv
	buffer_gl0_inv
	v_cmpx_eq_u32_e32 0, v0
	s_cbranch_execz .LBB2_246
; %bb.245:
	s_bcnt1_i32_b32 s4, s4
	s_delay_alu instid0(SALU_CYCLE_1)
	v_dual_mov_b32 v5, 0 :: v_dual_mov_b32 v4, s4
	ds_add_u64 v0, v[4:5]
	s_cbranch_execnz .LBB2_278
.LBB2_246:
	s_or_b32 exec_lo, exec_lo, s3
	s_cbranch_execnz .LBB2_263
; %bb.247:
	v_ashrrev_i32_e32 v0, 31, v1
	s_mov_b32 s3, exec_lo
	s_delay_alu instid0(VALU_DEP_1) | instskip(NEXT) | instid1(VALU_DEP_1)
	v_lshrrev_b32_e32 v0, 27, v0
	v_add_nc_u32_e32 v0, v1, v0
	ds_load_b64 v[4:5], v0
	v_ashrrev_i32_e32 v0, 5, v0
	s_delay_alu instid0(VALU_DEP_1) | instskip(SKIP_1) | instid1(VALU_DEP_2)
	v_ashrrev_i32_e32 v1, 31, v0
	v_add_co_u32 v0, vcc_lo, v2, v0
	v_add_co_ci_u32_e32 v1, vcc_lo, v3, v1, vcc_lo
	s_waitcnt lgkmcnt(0)
	s_delay_alu instid0(VALU_DEP_1)
	v_cmpx_lt_u64_e64 v[4:5], v[0:1]
	s_cbranch_execz .LBB2_316
; %bb.248:
	s_mov_b32 s4, 0
	s_mov_b32 s7, 0
                                        ; implicit-def: $sgpr5
                                        ; implicit-def: $sgpr6
	s_branch .LBB2_268
.LBB2_249:
	s_trap 2
	s_sendmsg_rtn_b32 s0, sendmsg(MSG_RTN_GET_DOORBELL)
	s_mov_b32 ttmp2, m0
	s_waitcnt lgkmcnt(0)
	s_and_b32 s0, s0, 0x3ff
	s_delay_alu instid0(SALU_CYCLE_1) | instskip(NEXT) | instid1(SALU_CYCLE_1)
	s_bitset1_b32 s0, 10
	s_mov_b32 m0, s0
	s_sendmsg sendmsg(MSG_INTERRUPT)
	s_mov_b32 m0, ttmp2
.LBB2_250:                              ; =>This Inner Loop Header: Depth=1
	s_sethalt 5
	s_branch .LBB2_250
.LBB2_251:
	s_trap 2
	s_sendmsg_rtn_b32 s0, sendmsg(MSG_RTN_GET_DOORBELL)
	s_mov_b32 ttmp2, m0
	s_waitcnt lgkmcnt(0)
	s_and_b32 s0, s0, 0x3ff
	s_delay_alu instid0(SALU_CYCLE_1) | instskip(NEXT) | instid1(SALU_CYCLE_1)
	s_bitset1_b32 s0, 10
	s_mov_b32 m0, s0
	s_sendmsg sendmsg(MSG_INTERRUPT)
	s_mov_b32 m0, ttmp2
.LBB2_252:                              ; =>This Inner Loop Header: Depth=1
	s_sethalt 5
	s_branch .LBB2_252
.LBB2_253:
	s_trap 2
	s_sendmsg_rtn_b32 s0, sendmsg(MSG_RTN_GET_DOORBELL)
	s_mov_b32 ttmp2, m0
	s_waitcnt lgkmcnt(0)
	s_and_b32 s0, s0, 0x3ff
	s_delay_alu instid0(SALU_CYCLE_1) | instskip(NEXT) | instid1(SALU_CYCLE_1)
	s_bitset1_b32 s0, 10
	s_mov_b32 m0, s0
	s_sendmsg sendmsg(MSG_INTERRUPT)
	s_mov_b32 m0, ttmp2
.LBB2_254:                              ; =>This Inner Loop Header: Depth=1
	s_sethalt 5
	s_branch .LBB2_254
.LBB2_255:
	s_trap 2
	s_sendmsg_rtn_b32 s0, sendmsg(MSG_RTN_GET_DOORBELL)
	s_mov_b32 ttmp2, m0
	s_waitcnt lgkmcnt(0)
	s_and_b32 s0, s0, 0x3ff
	s_delay_alu instid0(SALU_CYCLE_1) | instskip(NEXT) | instid1(SALU_CYCLE_1)
	s_bitset1_b32 s0, 10
	s_mov_b32 m0, s0
	s_sendmsg sendmsg(MSG_INTERRUPT)
	s_mov_b32 m0, ttmp2
.LBB2_256:                              ; =>This Inner Loop Header: Depth=1
	s_sethalt 5
	s_branch .LBB2_256
.LBB2_257:
	s_trap 2
	s_sendmsg_rtn_b32 s0, sendmsg(MSG_RTN_GET_DOORBELL)
	s_mov_b32 ttmp2, m0
	s_waitcnt lgkmcnt(0)
	s_and_b32 s0, s0, 0x3ff
	s_delay_alu instid0(SALU_CYCLE_1) | instskip(NEXT) | instid1(SALU_CYCLE_1)
	s_bitset1_b32 s0, 10
	s_mov_b32 m0, s0
	s_sendmsg sendmsg(MSG_INTERRUPT)
	s_mov_b32 m0, ttmp2
.LBB2_258:                              ; =>This Inner Loop Header: Depth=1
	s_sethalt 5
	s_branch .LBB2_258
.LBB2_259:
	s_trap 2
	s_sendmsg_rtn_b32 s0, sendmsg(MSG_RTN_GET_DOORBELL)
	s_mov_b32 ttmp2, m0
	s_waitcnt lgkmcnt(0)
	s_and_b32 s0, s0, 0x3ff
	s_delay_alu instid0(SALU_CYCLE_1) | instskip(NEXT) | instid1(SALU_CYCLE_1)
	s_bitset1_b32 s0, 10
	s_mov_b32 m0, s0
	s_sendmsg sendmsg(MSG_INTERRUPT)
	s_mov_b32 m0, ttmp2
.LBB2_260:                              ; =>This Inner Loop Header: Depth=1
	s_sethalt 5
	s_branch .LBB2_260
.LBB2_261:
	s_trap 2
	s_sendmsg_rtn_b32 s0, sendmsg(MSG_RTN_GET_DOORBELL)
	s_mov_b32 ttmp2, m0
	s_waitcnt lgkmcnt(0)
	s_and_b32 s0, s0, 0x3ff
	s_delay_alu instid0(SALU_CYCLE_1) | instskip(NEXT) | instid1(SALU_CYCLE_1)
	s_bitset1_b32 s0, 10
	s_mov_b32 m0, s0
	s_sendmsg sendmsg(MSG_INTERRUPT)
	s_mov_b32 m0, ttmp2
.LBB2_262:                              ; =>This Inner Loop Header: Depth=1
	s_sethalt 5
	s_branch .LBB2_262
.LBB2_263:
	s_trap 2
	s_sendmsg_rtn_b32 s0, sendmsg(MSG_RTN_GET_DOORBELL)
	s_mov_b32 ttmp2, m0
	s_waitcnt lgkmcnt(0)
	s_and_b32 s0, s0, 0x3ff
	s_delay_alu instid0(SALU_CYCLE_1) | instskip(NEXT) | instid1(SALU_CYCLE_1)
	s_bitset1_b32 s0, 10
	s_mov_b32 m0, s0
	s_sendmsg sendmsg(MSG_INTERRUPT)
	s_mov_b32 m0, ttmp2
.LBB2_264:                              ; =>This Inner Loop Header: Depth=1
	s_sethalt 5
	s_branch .LBB2_264
.LBB2_265:
	s_trap 2
	s_sendmsg_rtn_b32 s0, sendmsg(MSG_RTN_GET_DOORBELL)
	s_mov_b32 ttmp2, m0
	s_waitcnt lgkmcnt(0)
	s_and_b32 s0, s0, 0x3ff
	s_delay_alu instid0(SALU_CYCLE_1) | instskip(NEXT) | instid1(SALU_CYCLE_1)
	s_bitset1_b32 s0, 10
	s_mov_b32 m0, s0
	s_sendmsg sendmsg(MSG_INTERRUPT)
	s_mov_b32 m0, ttmp2
.LBB2_266:                              ; =>This Inner Loop Header: Depth=1
	s_sethalt 5
	s_branch .LBB2_266
.LBB2_267:                              ;   in Loop: Header=BB2_268 Depth=1
	s_or_b32 exec_lo, exec_lo, s10
	s_delay_alu instid0(SALU_CYCLE_1) | instskip(NEXT) | instid1(SALU_CYCLE_1)
	s_and_b32 s8, exec_lo, s9
	s_or_b32 s4, s8, s4
	s_and_not1_b32 s5, s5, exec_lo
	s_and_b32 s8, s6, exec_lo
	s_delay_alu instid0(SALU_CYCLE_1)
	s_or_b32 s5, s5, s8
	s_and_not1_b32 exec_lo, exec_lo, s4
	s_cbranch_execz .LBB2_314
.LBB2_268:                              ; =>This Inner Loop Header: Depth=1
	s_add_i32 s7, s7, 1
                                        ; implicit-def: $sgpr9
	s_delay_alu instid0(SALU_CYCLE_1) | instskip(SKIP_1) | instid1(SALU_CYCLE_1)
	s_cmpk_lg_i32 s7, 0x2710
	s_cselect_b32 s8, -1, 0
	s_and_b32 vcc_lo, exec_lo, s8
	s_cbranch_vccz .LBB2_272
.LBB2_269:                              ;   in Loop: Header=BB2_268 Depth=1
	s_and_not1_b32 s6, s6, exec_lo
	s_and_b32 s10, s9, exec_lo
	s_mov_b32 s9, -1
	s_or_b32 s6, s6, s10
	s_and_saveexec_b32 s10, s8
	s_cbranch_execz .LBB2_267
; %bb.270:                              ;   in Loop: Header=BB2_268 Depth=1
	s_sleep 1
	s_cbranch_execnz .LBB2_292
; %bb.271:                              ;   in Loop: Header=BB2_268 Depth=1
	ds_load_b64 v[2:3], v0
	s_and_not1_b32 s6, s6, exec_lo
	s_waitcnt lgkmcnt(0)
	v_cmp_ge_u64_e32 vcc_lo, v[2:3], v[0:1]
	s_or_not1_b32 s9, vcc_lo, exec_lo
	s_branch .LBB2_267
.LBB2_272:                              ;   in Loop: Header=BB2_268 Depth=1
	s_cbranch_execnz .LBB2_298
; %bb.273:                              ;   in Loop: Header=BB2_268 Depth=1
	ds_load_b64 v[2:3], v0
	s_and_not1_b32 s8, s8, exec_lo
	s_mov_b32 s7, 0
	s_mov_b32 s9, -1
	s_waitcnt lgkmcnt(0)
	flat_load_b32 v2, v[2:3] glc
	s_waitcnt vmcnt(0) lgkmcnt(0)
	buffer_gl1_inv
	buffer_gl0_inv
	v_cmp_eq_u32_e32 vcc_lo, 0, v2
	s_and_b32 s10, vcc_lo, exec_lo
	s_delay_alu instid0(SALU_CYCLE_1)
	s_or_b32 s8, s8, s10
	s_branch .LBB2_269
.LBB2_274:
	s_trap 2
	s_sendmsg_rtn_b32 s0, sendmsg(MSG_RTN_GET_DOORBELL)
	s_mov_b32 ttmp2, m0
	s_waitcnt lgkmcnt(0)
	s_and_b32 s0, s0, 0x3ff
	s_delay_alu instid0(SALU_CYCLE_1) | instskip(NEXT) | instid1(SALU_CYCLE_1)
	s_bitset1_b32 s0, 10
	s_mov_b32 m0, s0
	s_sendmsg sendmsg(MSG_INTERRUPT)
	s_mov_b32 m0, ttmp2
.LBB2_275:                              ; =>This Inner Loop Header: Depth=1
	s_sethalt 5
	s_branch .LBB2_275
.LBB2_276:
	s_trap 2
	s_sendmsg_rtn_b32 s0, sendmsg(MSG_RTN_GET_DOORBELL)
	s_mov_b32 ttmp2, m0
	s_waitcnt lgkmcnt(0)
	s_and_b32 s0, s0, 0x3ff
	s_delay_alu instid0(SALU_CYCLE_1) | instskip(NEXT) | instid1(SALU_CYCLE_1)
	s_bitset1_b32 s0, 10
	s_mov_b32 m0, s0
	s_sendmsg sendmsg(MSG_INTERRUPT)
	s_mov_b32 m0, ttmp2
.LBB2_277:                              ; =>This Inner Loop Header: Depth=1
	s_sethalt 5
	s_branch .LBB2_277
.LBB2_278:
	s_trap 2
	s_sendmsg_rtn_b32 s0, sendmsg(MSG_RTN_GET_DOORBELL)
	s_mov_b32 ttmp2, m0
	s_waitcnt lgkmcnt(0)
	s_and_b32 s0, s0, 0x3ff
	s_delay_alu instid0(SALU_CYCLE_1) | instskip(NEXT) | instid1(SALU_CYCLE_1)
	s_bitset1_b32 s0, 10
	s_mov_b32 m0, s0
	s_sendmsg sendmsg(MSG_INTERRUPT)
	s_mov_b32 m0, ttmp2
.LBB2_279:                              ; =>This Inner Loop Header: Depth=1
	s_sethalt 5
	s_branch .LBB2_279
.LBB2_280:
	s_trap 2
	s_sendmsg_rtn_b32 s0, sendmsg(MSG_RTN_GET_DOORBELL)
	s_mov_b32 ttmp2, m0
	s_waitcnt lgkmcnt(0)
	s_and_b32 s0, s0, 0x3ff
	s_delay_alu instid0(SALU_CYCLE_1) | instskip(NEXT) | instid1(SALU_CYCLE_1)
	s_bitset1_b32 s0, 10
	s_mov_b32 m0, s0
	s_sendmsg sendmsg(MSG_INTERRUPT)
	s_mov_b32 m0, ttmp2
.LBB2_281:                              ; =>This Inner Loop Header: Depth=1
	s_sethalt 5
	s_branch .LBB2_281
.LBB2_282:
	s_trap 2
	s_sendmsg_rtn_b32 s0, sendmsg(MSG_RTN_GET_DOORBELL)
	s_mov_b32 ttmp2, m0
	s_waitcnt lgkmcnt(0)
	s_and_b32 s0, s0, 0x3ff
	s_delay_alu instid0(SALU_CYCLE_1) | instskip(NEXT) | instid1(SALU_CYCLE_1)
	s_bitset1_b32 s0, 10
	s_mov_b32 m0, s0
	s_sendmsg sendmsg(MSG_INTERRUPT)
	s_mov_b32 m0, ttmp2
.LBB2_283:                              ; =>This Inner Loop Header: Depth=1
	s_sethalt 5
	s_branch .LBB2_283
.LBB2_284:
	s_trap 2
	s_sendmsg_rtn_b32 s0, sendmsg(MSG_RTN_GET_DOORBELL)
	s_mov_b32 ttmp2, m0
	s_waitcnt lgkmcnt(0)
	s_and_b32 s0, s0, 0x3ff
	s_delay_alu instid0(SALU_CYCLE_1) | instskip(NEXT) | instid1(SALU_CYCLE_1)
	s_bitset1_b32 s0, 10
	s_mov_b32 m0, s0
	s_sendmsg sendmsg(MSG_INTERRUPT)
	s_mov_b32 m0, ttmp2
.LBB2_285:                              ; =>This Inner Loop Header: Depth=1
	s_sethalt 5
	s_branch .LBB2_285
.LBB2_286:
	s_trap 2
	s_sendmsg_rtn_b32 s0, sendmsg(MSG_RTN_GET_DOORBELL)
	s_mov_b32 ttmp2, m0
	s_waitcnt lgkmcnt(0)
	s_and_b32 s0, s0, 0x3ff
	s_delay_alu instid0(SALU_CYCLE_1) | instskip(NEXT) | instid1(SALU_CYCLE_1)
	s_bitset1_b32 s0, 10
	s_mov_b32 m0, s0
	s_sendmsg sendmsg(MSG_INTERRUPT)
	s_mov_b32 m0, ttmp2
.LBB2_287:                              ; =>This Inner Loop Header: Depth=1
	s_sethalt 5
	s_branch .LBB2_287
.LBB2_288:
	s_trap 2
	s_sendmsg_rtn_b32 s0, sendmsg(MSG_RTN_GET_DOORBELL)
	s_mov_b32 ttmp2, m0
	s_waitcnt lgkmcnt(0)
	s_and_b32 s0, s0, 0x3ff
	s_delay_alu instid0(SALU_CYCLE_1) | instskip(NEXT) | instid1(SALU_CYCLE_1)
	s_bitset1_b32 s0, 10
	s_mov_b32 m0, s0
	s_sendmsg sendmsg(MSG_INTERRUPT)
	s_mov_b32 m0, ttmp2
.LBB2_289:                              ; =>This Inner Loop Header: Depth=1
	s_sethalt 5
	s_branch .LBB2_289
.LBB2_290:
	s_trap 2
	s_sendmsg_rtn_b32 s0, sendmsg(MSG_RTN_GET_DOORBELL)
	s_mov_b32 ttmp2, m0
	s_waitcnt lgkmcnt(0)
	s_and_b32 s0, s0, 0x3ff
	s_delay_alu instid0(SALU_CYCLE_1) | instskip(NEXT) | instid1(SALU_CYCLE_1)
	s_bitset1_b32 s0, 10
	s_mov_b32 m0, s0
	s_sendmsg sendmsg(MSG_INTERRUPT)
	s_mov_b32 m0, ttmp2
.LBB2_291:                              ; =>This Inner Loop Header: Depth=1
	s_sethalt 5
	s_branch .LBB2_291
.LBB2_292:
	s_trap 2
	s_sendmsg_rtn_b32 s0, sendmsg(MSG_RTN_GET_DOORBELL)
	s_mov_b32 ttmp2, m0
	s_waitcnt lgkmcnt(0)
	s_and_b32 s0, s0, 0x3ff
	s_delay_alu instid0(SALU_CYCLE_1) | instskip(NEXT) | instid1(SALU_CYCLE_1)
	s_bitset1_b32 s0, 10
	s_mov_b32 m0, s0
	s_sendmsg sendmsg(MSG_INTERRUPT)
	s_mov_b32 m0, ttmp2
.LBB2_293:                              ; =>This Inner Loop Header: Depth=1
	s_sethalt 5
	s_branch .LBB2_293
.LBB2_294:
	s_trap 2
	s_sendmsg_rtn_b32 s0, sendmsg(MSG_RTN_GET_DOORBELL)
	s_mov_b32 ttmp2, m0
	s_waitcnt lgkmcnt(0)
	s_and_b32 s0, s0, 0x3ff
	s_delay_alu instid0(SALU_CYCLE_1) | instskip(NEXT) | instid1(SALU_CYCLE_1)
	s_bitset1_b32 s0, 10
	s_mov_b32 m0, s0
	s_sendmsg sendmsg(MSG_INTERRUPT)
	s_mov_b32 m0, ttmp2
.LBB2_295:                              ; =>This Inner Loop Header: Depth=1
	s_sethalt 5
	s_branch .LBB2_295
.LBB2_296:
	s_trap 2
	s_sendmsg_rtn_b32 s0, sendmsg(MSG_RTN_GET_DOORBELL)
	s_mov_b32 ttmp2, m0
	s_waitcnt lgkmcnt(0)
	s_and_b32 s0, s0, 0x3ff
	s_delay_alu instid0(SALU_CYCLE_1) | instskip(NEXT) | instid1(SALU_CYCLE_1)
	s_bitset1_b32 s0, 10
	s_mov_b32 m0, s0
	s_sendmsg sendmsg(MSG_INTERRUPT)
	s_mov_b32 m0, ttmp2
.LBB2_297:                              ; =>This Inner Loop Header: Depth=1
	s_sethalt 5
	s_branch .LBB2_297
.LBB2_298:
	s_trap 2
	s_sendmsg_rtn_b32 s0, sendmsg(MSG_RTN_GET_DOORBELL)
	s_mov_b32 ttmp2, m0
	s_waitcnt lgkmcnt(0)
	s_and_b32 s0, s0, 0x3ff
	s_delay_alu instid0(SALU_CYCLE_1) | instskip(NEXT) | instid1(SALU_CYCLE_1)
	s_bitset1_b32 s0, 10
	s_mov_b32 m0, s0
	s_sendmsg sendmsg(MSG_INTERRUPT)
	s_mov_b32 m0, ttmp2
.LBB2_299:                              ; =>This Inner Loop Header: Depth=1
	s_sethalt 5
	s_branch .LBB2_299
.LBB2_300:
	s_trap 2
	s_sendmsg_rtn_b32 s0, sendmsg(MSG_RTN_GET_DOORBELL)
	s_mov_b32 ttmp2, m0
	s_waitcnt lgkmcnt(0)
	s_and_b32 s0, s0, 0x3ff
	s_delay_alu instid0(SALU_CYCLE_1) | instskip(NEXT) | instid1(SALU_CYCLE_1)
	s_bitset1_b32 s0, 10
	s_mov_b32 m0, s0
	s_sendmsg sendmsg(MSG_INTERRUPT)
	s_mov_b32 m0, ttmp2
.LBB2_301:                              ; =>This Inner Loop Header: Depth=1
	s_sethalt 5
	s_branch .LBB2_301
.LBB2_302:
	s_trap 2
	s_sendmsg_rtn_b32 s0, sendmsg(MSG_RTN_GET_DOORBELL)
	s_mov_b32 ttmp2, m0
	s_waitcnt lgkmcnt(0)
	s_and_b32 s0, s0, 0x3ff
	s_delay_alu instid0(SALU_CYCLE_1) | instskip(NEXT) | instid1(SALU_CYCLE_1)
	s_bitset1_b32 s0, 10
	s_mov_b32 m0, s0
	s_sendmsg sendmsg(MSG_INTERRUPT)
	s_mov_b32 m0, ttmp2
.LBB2_303:                              ; =>This Inner Loop Header: Depth=1
	s_sethalt 5
	s_branch .LBB2_303
.LBB2_304:
	s_trap 2
	s_sendmsg_rtn_b32 s0, sendmsg(MSG_RTN_GET_DOORBELL)
	s_mov_b32 ttmp2, m0
	s_waitcnt lgkmcnt(0)
	s_and_b32 s0, s0, 0x3ff
	s_delay_alu instid0(SALU_CYCLE_1) | instskip(NEXT) | instid1(SALU_CYCLE_1)
	s_bitset1_b32 s0, 10
	s_mov_b32 m0, s0
	s_sendmsg sendmsg(MSG_INTERRUPT)
	s_mov_b32 m0, ttmp2
.LBB2_305:                              ; =>This Inner Loop Header: Depth=1
	s_sethalt 5
	s_branch .LBB2_305
.LBB2_306:
	s_trap 2
	s_sendmsg_rtn_b32 s0, sendmsg(MSG_RTN_GET_DOORBELL)
	s_mov_b32 ttmp2, m0
	s_waitcnt lgkmcnt(0)
	s_and_b32 s0, s0, 0x3ff
	s_delay_alu instid0(SALU_CYCLE_1) | instskip(NEXT) | instid1(SALU_CYCLE_1)
	s_bitset1_b32 s0, 10
	s_mov_b32 m0, s0
	s_sendmsg sendmsg(MSG_INTERRUPT)
	s_mov_b32 m0, ttmp2
.LBB2_307:                              ; =>This Inner Loop Header: Depth=1
	s_sethalt 5
	s_branch .LBB2_307
.LBB2_308:
	s_trap 2
	s_sendmsg_rtn_b32 s0, sendmsg(MSG_RTN_GET_DOORBELL)
	s_mov_b32 ttmp2, m0
	s_waitcnt lgkmcnt(0)
	s_and_b32 s0, s0, 0x3ff
	s_delay_alu instid0(SALU_CYCLE_1) | instskip(NEXT) | instid1(SALU_CYCLE_1)
	s_bitset1_b32 s0, 10
	s_mov_b32 m0, s0
	s_sendmsg sendmsg(MSG_INTERRUPT)
	s_mov_b32 m0, ttmp2
.LBB2_309:                              ; =>This Inner Loop Header: Depth=1
	s_sethalt 5
	s_branch .LBB2_309
.LBB2_310:
	s_trap 2
	s_sendmsg_rtn_b32 s0, sendmsg(MSG_RTN_GET_DOORBELL)
	s_mov_b32 ttmp2, m0
	s_waitcnt lgkmcnt(0)
	s_and_b32 s0, s0, 0x3ff
	s_delay_alu instid0(SALU_CYCLE_1) | instskip(NEXT) | instid1(SALU_CYCLE_1)
	s_bitset1_b32 s0, 10
	s_mov_b32 m0, s0
	s_sendmsg sendmsg(MSG_INTERRUPT)
	s_mov_b32 m0, ttmp2
.LBB2_311:                              ; =>This Inner Loop Header: Depth=1
	s_sethalt 5
	s_branch .LBB2_311
.LBB2_312:
	s_trap 2
	s_sendmsg_rtn_b32 s0, sendmsg(MSG_RTN_GET_DOORBELL)
	s_mov_b32 ttmp2, m0
	s_waitcnt lgkmcnt(0)
	s_and_b32 s0, s0, 0x3ff
	s_delay_alu instid0(SALU_CYCLE_1) | instskip(NEXT) | instid1(SALU_CYCLE_1)
	s_bitset1_b32 s0, 10
	s_mov_b32 m0, s0
	s_sendmsg sendmsg(MSG_INTERRUPT)
	s_mov_b32 m0, ttmp2
.LBB2_313:                              ; =>This Inner Loop Header: Depth=1
	s_sethalt 5
	s_branch .LBB2_313
.LBB2_314:
	s_or_b32 exec_lo, exec_lo, s4
	s_and_saveexec_b32 s4, s5
	s_delay_alu instid0(SALU_CYCLE_1)
	s_xor_b32 s4, exec_lo, s4
	s_cbranch_execz .LBB2_316
; %bb.315:
	v_mov_b32_e32 v0, 1
	ds_store_b32 v0, v0
	s_cbranch_execnz .LBB2_323
.LBB2_316:
	s_or_b32 exec_lo, exec_lo, s3
	;;#ASMSTART
	s_wakeup
	;;#ASMEND
.LBB2_317:
	s_or_b32 exec_lo, exec_lo, s2
.LBB2_318:
	s_and_not1_saveexec_b32 s1, s1
	s_cbranch_execz .LBB2_320
; %bb.319:
	s_waitcnt vmcnt(0) lgkmcnt(0)
	s_waitcnt_vscnt null, 0x0
	buffer_gl1_inv
	buffer_gl0_inv
	s_barrier
.LBB2_320:
	s_or_b32 exec_lo, exec_lo, s0
	s_waitcnt vmcnt(0) lgkmcnt(0)
	s_setpc_b64 s[30:31]
.LBB2_321:
	s_trap 2
	s_sendmsg_rtn_b32 s0, sendmsg(MSG_RTN_GET_DOORBELL)
	s_mov_b32 ttmp2, m0
	s_waitcnt lgkmcnt(0)
	s_and_b32 s0, s0, 0x3ff
	s_delay_alu instid0(SALU_CYCLE_1) | instskip(NEXT) | instid1(SALU_CYCLE_1)
	s_bitset1_b32 s0, 10
	s_mov_b32 m0, s0
	s_sendmsg sendmsg(MSG_INTERRUPT)
	s_mov_b32 m0, ttmp2
.LBB2_322:                              ; =>This Inner Loop Header: Depth=1
	s_sethalt 5
	s_branch .LBB2_322
.LBB2_323:
	s_trap 2
	s_sendmsg_rtn_b32 s0, sendmsg(MSG_RTN_GET_DOORBELL)
	s_mov_b32 ttmp2, m0
	s_waitcnt lgkmcnt(0)
	s_and_b32 s0, s0, 0x3ff
	s_delay_alu instid0(SALU_CYCLE_1) | instskip(NEXT) | instid1(SALU_CYCLE_1)
	s_bitset1_b32 s0, 10
	s_mov_b32 m0, s0
	s_sendmsg sendmsg(MSG_INTERRUPT)
	s_mov_b32 m0, ttmp2
.LBB2_324:                              ; =>This Inner Loop Header: Depth=1
	s_sethalt 5
	s_branch .LBB2_324
.LBB2_325:
	s_trap 2
	s_sendmsg_rtn_b32 s0, sendmsg(MSG_RTN_GET_DOORBELL)
	s_mov_b32 ttmp2, m0
	s_waitcnt lgkmcnt(0)
	s_and_b32 s0, s0, 0x3ff
	s_delay_alu instid0(SALU_CYCLE_1) | instskip(NEXT) | instid1(SALU_CYCLE_1)
	s_bitset1_b32 s0, 10
	s_mov_b32 m0, s0
	s_sendmsg sendmsg(MSG_INTERRUPT)
	s_mov_b32 m0, ttmp2
.LBB2_326:                              ; =>This Inner Loop Header: Depth=1
	s_sethalt 5
	s_branch .LBB2_326
.LBB2_327:
	s_trap 2
	s_sendmsg_rtn_b32 s0, sendmsg(MSG_RTN_GET_DOORBELL)
	s_mov_b32 ttmp2, m0
	s_waitcnt lgkmcnt(0)
	s_and_b32 s0, s0, 0x3ff
	s_delay_alu instid0(SALU_CYCLE_1) | instskip(NEXT) | instid1(SALU_CYCLE_1)
	s_bitset1_b32 s0, 10
	s_mov_b32 m0, s0
	s_sendmsg sendmsg(MSG_INTERRUPT)
	s_mov_b32 m0, ttmp2
.LBB2_328:                              ; =>This Inner Loop Header: Depth=1
	s_sethalt 5
	s_branch .LBB2_328
.LBB2_329:
	s_trap 2
	s_sendmsg_rtn_b32 s0, sendmsg(MSG_RTN_GET_DOORBELL)
	s_mov_b32 ttmp2, m0
	s_waitcnt lgkmcnt(0)
	s_and_b32 s0, s0, 0x3ff
	s_delay_alu instid0(SALU_CYCLE_1) | instskip(NEXT) | instid1(SALU_CYCLE_1)
	s_bitset1_b32 s0, 10
	s_mov_b32 m0, s0
	s_sendmsg sendmsg(MSG_INTERRUPT)
	s_mov_b32 m0, ttmp2
.LBB2_330:                              ; =>This Inner Loop Header: Depth=1
	s_sethalt 5
	s_branch .LBB2_330
.Lfunc_end2:
	.size	_ZN12_GLOBAL__N_17runRingI6__half8FuncProdIS1_E7ProtoLLLi0ELi2ELi0EEEviiP15ncclDevWorkColl, .Lfunc_end2-_ZN12_GLOBAL__N_17runRingI6__half8FuncProdIS1_E7ProtoLLLi0ELi2ELi0EEEviiP15ncclDevWorkColl
                                        ; -- End function
	.section	.AMDGPU.csdata,"",@progbits
; Function info:
; codeLenInByte = 9992
; NumSgprs: 34
; NumVgprs: 178
; ScratchSize: 0
; MemoryBound: 0
	.text
	.p2align	2                               ; -- Begin function _Z48ncclDevFunc_ReduceScatter_RING_LL_Prod_f16_0_0_2v
	.type	_Z48ncclDevFunc_ReduceScatter_RING_LL_Prod_f16_0_0_2v,@function
_Z48ncclDevFunc_ReduceScatter_RING_LL_Prod_f16_0_0_2v: ; @_Z48ncclDevFunc_ReduceScatter_RING_LL_Prod_f16_0_0_2v
; %bb.0:
	s_waitcnt vmcnt(0) expcnt(0) lgkmcnt(0)
	s_mov_b32 s0, s33
	s_mov_b32 s33, s32
	s_or_saveexec_b32 s1, -1
	scratch_store_b32 off, v40, s33         ; 4-byte Folded Spill
	s_mov_b32 exec_lo, s1
	v_writelane_b32 v40, s0, 6
	s_add_i32 s32, s32, 16
	v_writelane_b32 v40, s34, 0
	v_writelane_b32 v40, s35, 1
	;; [unrolled: 1-line block ×6, first 2 shown]
	s_cbranch_execnz .LBB3_13
; %bb.1:
	ds_load_b32 v0, v0
	s_waitcnt lgkmcnt(0)
	v_cmp_gt_i32_e32 vcc_lo, 1, v0
	s_cbranch_vccnz .LBB3_12
; %bb.2:
	v_and_b32_e32 v178, 0x3ff, v31
	s_mov_b32 s36, 0
	s_mov_b64 s[34:35], src_shared_base
.LBB3_3:                                ; =>This Inner Loop Header: Depth=1
	s_cbranch_execnz .LBB3_15
; %bb.4:                                ;   in Loop: Header=BB3_3 Depth=1
	ds_load_b32 v0, v0
	s_cmp_eq_u32 s36, 0
	s_cbranch_scc1 .LBB3_8
; %bb.5:                                ;   in Loop: Header=BB3_3 Depth=1
	s_cbranch_execnz .LBB3_19
; %bb.6:                                ;   in Loop: Header=BB3_3 Depth=1
	s_waitcnt lgkmcnt(0)
	ds_load_b32 v1, v0
	s_waitcnt lgkmcnt(0)
	v_xor_b32_e32 v1, v1, v0
	s_delay_alu instid0(VALU_DEP_1) | instskip(NEXT) | instid1(VALU_DEP_1)
	v_and_b32_e32 v1, 0xff0000, v1
	v_cmp_eq_u32_e32 vcc_lo, 0, v1
	s_cbranch_vccnz .LBB3_8
; %bb.7:                                ;   in Loop: Header=BB3_3 Depth=1
	s_waitcnt_vscnt null, 0x0
	s_barrier
	buffer_gl0_inv
	ds_load_b32 v0, v0
.LBB3_8:                                ;   in Loop: Header=BB3_3 Depth=1
	s_waitcnt lgkmcnt(0)
	v_lshrrev_b32_e32 v0, 11, v0
	s_mov_b32 s37, exec_lo
	s_delay_alu instid0(VALU_DEP_1) | instskip(NEXT) | instid1(VALU_DEP_1)
	v_and_b32_e32 v1, 0x1fe0, v0
	v_cmpx_lt_u32_e64 v178, v1
	s_cbranch_execz .LBB3_10
; %bb.9:                                ;   in Loop: Header=BB3_3 Depth=1
	v_dual_mov_b32 v0, v178 :: v_dual_mov_b32 v3, s35
	s_getpc_b64 s[0:1]
	s_add_u32 s0, s0, _ZN12_GLOBAL__N_17runRingI6__half8FuncProdIS1_E7ProtoLLLi0ELi2ELi0EEEviiP15ncclDevWorkColl@rel32@lo+4
	s_addc_u32 s1, s1, _ZN12_GLOBAL__N_17runRingI6__half8FuncProdIS1_E7ProtoLLLi0ELi2ELi0EEEviiP15ncclDevWorkColl@rel32@hi+12
	s_mov_b64 s[28:29], s[8:9]
	s_mov_b32 s34, s12
	s_swappc_b64 s[30:31], s[0:1]
	s_mov_b32 s12, s34
	s_mov_b64 s[8:9], s[28:29]
.LBB3_10:                               ;   in Loop: Header=BB3_3 Depth=1
	s_or_b32 exec_lo, exec_lo, s37
	s_cbranch_execnz .LBB3_17
; %bb.11:                               ;   in Loop: Header=BB3_3 Depth=1
	ds_load_b32 v0, v0
	s_add_i32 s36, s36, 1
	s_waitcnt lgkmcnt(0)
	v_cmp_lt_i32_e32 vcc_lo, s36, v0
	s_cbranch_vccnz .LBB3_3
.LBB3_12:
	v_readlane_b32 s30, v40, 4
	v_readlane_b32 s31, v40, 5
	;; [unrolled: 1-line block ×7, first 2 shown]
	s_or_saveexec_b32 s1, -1
	scratch_load_b32 v40, off, s33          ; 4-byte Folded Reload
	s_mov_b32 exec_lo, s1
	s_add_i32 s32, s32, -16
	s_mov_b32 s33, s0
	s_waitcnt vmcnt(0)
	s_setpc_b64 s[30:31]
.LBB3_13:
	s_trap 2
	s_sendmsg_rtn_b32 s0, sendmsg(MSG_RTN_GET_DOORBELL)
	s_mov_b32 ttmp2, m0
	s_waitcnt lgkmcnt(0)
	s_and_b32 s0, s0, 0x3ff
	s_delay_alu instid0(SALU_CYCLE_1) | instskip(NEXT) | instid1(SALU_CYCLE_1)
	s_bitset1_b32 s0, 10
	s_mov_b32 m0, s0
	s_sendmsg sendmsg(MSG_INTERRUPT)
	s_mov_b32 m0, ttmp2
.LBB3_14:                               ; =>This Inner Loop Header: Depth=1
	s_sethalt 5
	s_branch .LBB3_14
.LBB3_15:
	s_trap 2
	s_sendmsg_rtn_b32 s0, sendmsg(MSG_RTN_GET_DOORBELL)
	s_mov_b32 ttmp2, m0
	s_waitcnt lgkmcnt(0)
	s_and_b32 s0, s0, 0x3ff
	s_delay_alu instid0(SALU_CYCLE_1) | instskip(NEXT) | instid1(SALU_CYCLE_1)
	s_bitset1_b32 s0, 10
	s_mov_b32 m0, s0
	s_sendmsg sendmsg(MSG_INTERRUPT)
	s_mov_b32 m0, ttmp2
.LBB3_16:                               ; =>This Inner Loop Header: Depth=1
	s_sethalt 5
	s_branch .LBB3_16
.LBB3_17:
	s_trap 2
	s_sendmsg_rtn_b32 s0, sendmsg(MSG_RTN_GET_DOORBELL)
	s_mov_b32 ttmp2, m0
	s_waitcnt lgkmcnt(0)
	s_and_b32 s0, s0, 0x3ff
	s_delay_alu instid0(SALU_CYCLE_1) | instskip(NEXT) | instid1(SALU_CYCLE_1)
	s_bitset1_b32 s0, 10
	s_mov_b32 m0, s0
	s_sendmsg sendmsg(MSG_INTERRUPT)
	s_mov_b32 m0, ttmp2
.LBB3_18:                               ; =>This Inner Loop Header: Depth=1
	s_sethalt 5
	s_branch .LBB3_18
.LBB3_19:
	s_trap 2
	s_sendmsg_rtn_b32 s0, sendmsg(MSG_RTN_GET_DOORBELL)
	s_mov_b32 ttmp2, m0
	s_waitcnt lgkmcnt(0)
	s_and_b32 s0, s0, 0x3ff
	s_delay_alu instid0(SALU_CYCLE_1) | instskip(NEXT) | instid1(SALU_CYCLE_1)
	s_bitset1_b32 s0, 10
	s_mov_b32 m0, s0
	s_sendmsg sendmsg(MSG_INTERRUPT)
	s_mov_b32 m0, ttmp2
.LBB3_20:                               ; =>This Inner Loop Header: Depth=1
	s_sethalt 5
	s_branch .LBB3_20
.Lfunc_end3:
	.size	_Z48ncclDevFunc_ReduceScatter_RING_LL_Prod_f16_0_0_2v, .Lfunc_end3-_Z48ncclDevFunc_ReduceScatter_RING_LL_Prod_f16_0_0_2v
                                        ; -- End function
	.section	.AMDGPU.csdata,"",@progbits
; Function info:
; codeLenInByte = 628
; NumSgprs: 40
; NumVgprs: 179
; ScratchSize: 16
; MemoryBound: 0
	.text
	.p2align	2                               ; -- Begin function _ZN12_GLOBAL__N_17runRingI6__half8FuncProdIS1_E7ProtoLLLi0ELi4ELi0EEEviiP15ncclDevWorkColl
	.type	_ZN12_GLOBAL__N_17runRingI6__half8FuncProdIS1_E7ProtoLLLi0ELi4ELi0EEEviiP15ncclDevWorkColl,@function
_ZN12_GLOBAL__N_17runRingI6__half8FuncProdIS1_E7ProtoLLLi0ELi4ELi0EEEviiP15ncclDevWorkColl: ; @_ZN12_GLOBAL__N_17runRingI6__half8FuncProdIS1_E7ProtoLLLi0ELi4ELi0EEEviiP15ncclDevWorkColl
; %bb.0:
	s_waitcnt vmcnt(0) expcnt(0) lgkmcnt(0)
	s_cbranch_execnz .LBB4_15
; %bb.1:
	v_mov_b32_e32 v4, v0
	s_clause 0x2
	flat_load_b32 v0, v[2:3]
	flat_load_b128 v[6:9], v[2:3] offset:72
	flat_load_b64 v[20:21], v[2:3] offset:88
	s_mov_b32 s0, exec_lo
                                        ; implicit-def: $vgpr18_vgpr19
                                        ; implicit-def: $vgpr24_vgpr25
	s_waitcnt vmcnt(2) lgkmcnt(2)
	v_and_b32_e32 v12, 0xff, v0
	v_bfe_u32 v11, v0, 8, 8
	ds_load_b32 v10, v0
	v_not_b32_e32 v5, v12
	s_delay_alu instid0(VALU_DEP_1)
	v_add_nc_u32_e32 v0, v11, v5
	ds_load_b64 v[22:23], v0
	v_ashrrev_i32_e32 v13, 31, v0
	s_waitcnt vmcnt(1) lgkmcnt(3)
	v_mul_lo_u32 v14, v9, v0
	v_mad_u64_u32 v[54:55], null, v8, v0, 0
	s_delay_alu instid0(VALU_DEP_3) | instskip(SKIP_2) | instid1(VALU_DEP_2)
	v_mul_lo_u32 v0, v8, v13
	s_waitcnt lgkmcnt(1)
	v_readfirstlane_b32 s14, v10
	v_add3_u32 v0, v55, v0, v14
	v_cmpx_ne_u32_e64 v12, v10
	s_xor_b32 s0, exec_lo, s0
	s_cbranch_execz .LBB4_7
; %bb.2:
	s_mov_b32 s1, exec_lo
                                        ; implicit-def: $vgpr18_vgpr19
                                        ; implicit-def: $vgpr24_vgpr25
	v_cmpx_ne_u32_e64 v11, v10
	s_xor_b32 s1, exec_lo, s1
	s_cbranch_execz .LBB4_4
; %bb.3:
	flat_load_b64 v[11:12], v[2:3] offset:96
	v_add_nc_u32_e32 v5, v10, v5
	s_delay_alu instid0(VALU_DEP_1) | instskip(SKIP_2) | instid1(VALU_DEP_3)
	v_ashrrev_i32_e32 v10, 31, v5
	v_mul_lo_u32 v13, v9, v5
	v_mad_u64_u32 v[24:25], null, v8, v5, v[6:7]
	v_mul_lo_u32 v10, v8, v10
	s_delay_alu instid0(VALU_DEP_1)
	v_add3_u32 v25, v13, v25, v10
	s_waitcnt vmcnt(0) lgkmcnt(0)
	v_lshrrev_b64 v[18:19], 18, v[11:12]
.LBB4_4:
	s_and_not1_saveexec_b32 s1, s1
	s_cbranch_execz .LBB4_6
; %bb.5:
	flat_load_b32 v5, v[2:3] offset:100
	v_add_co_u32 v24, vcc_lo, v54, v6
	v_add_co_ci_u32_e32 v25, vcc_lo, v0, v7, vcc_lo
	s_waitcnt vmcnt(1)
	v_dual_mov_b32 v8, v20 :: v_dual_mov_b32 v9, v21
	s_waitcnt vmcnt(0) lgkmcnt(0)
	v_lshrrev_b32_e32 v18, 7, v5
.LBB4_6:
	s_or_b32 exec_lo, exec_lo, s1
.LBB4_7:
	s_and_not1_saveexec_b32 s0, s0
	s_cbranch_execz .LBB4_9
; %bb.8:
	flat_load_b64 v[8:9], v[2:3] offset:96
	v_mov_b32_e32 v24, 0
	v_mov_b32_e32 v25, 0
	s_waitcnt vmcnt(0) lgkmcnt(0)
	v_lshlrev_b64 v[18:19], 3, v[8:9]
	v_dual_mov_b32 v9, v7 :: v_dual_mov_b32 v8, v6
.LBB4_9:
	s_or_b32 exec_lo, exec_lo, s0
	s_load_b32 s0, s[8:9], 0x0
	v_mov_b32_e32 v5, 0
	s_mov_b32 s2, 0
	s_waitcnt lgkmcnt(0)
	s_cmp_lt_u32 s12, s0
	s_cselect_b32 s0, 12, 18
	s_delay_alu instid0(SALU_CYCLE_1)
	s_add_u32 s0, s8, s0
	s_addc_u32 s1, s9, 0
	s_clause 0x2
	flat_load_b128 v[10:13], v[2:3] offset:16
	flat_load_u16 v15, v[2:3] offset:8
	flat_load_b32 v14, v[2:3] offset:4
	global_load_u16 v19, v5, s[0:1]
	s_cbranch_execnz .LBB4_17
; %bb.10:
	ds_load_b32 v2, v0
	v_ashrrev_i32_e32 v5, 31, v4
	s_waitcnt vmcnt(1) lgkmcnt(1)
	v_lshrrev_b64 v[14:15], 31, v[14:15]
	s_delay_alu instid0(VALU_DEP_2) | instskip(NEXT) | instid1(VALU_DEP_2)
	v_lshrrev_b32_e32 v3, 27, v5
	v_and_b32_e32 v15, 3, v14
	s_delay_alu instid0(VALU_DEP_2) | instskip(NEXT) | instid1(VALU_DEP_1)
	v_add_nc_u32_e32 v3, v4, v3
	v_and_b32_e32 v3, 0xffffffe0, v3
	s_waitcnt lgkmcnt(0)
	v_cmp_gt_i32_e32 vcc_lo, 0, v2
	s_delay_alu instid0(VALU_DEP_2)
	v_sub_nc_u32_e32 v14, v4, v3
	v_readfirstlane_b32 s1, v2
	s_cbranch_vccnz .LBB4_19
; %bb.11:
	s_delay_alu instid0(VALU_DEP_2)
	v_cmp_eq_u32_e32 vcc_lo, 0, v14
	s_cbranch_execnz .LBB4_23
; %bb.12:
	ds_load_b64 v[16:17], v0
	v_dual_mov_b32 v3, 0 :: v_dual_and_b32 v26, 0xffff, v15
	s_mov_b32 s2, 1
	s_delay_alu instid0(VALU_DEP_1) | instskip(SKIP_1) | instid1(VALU_DEP_1)
	v_lshlrev_b64 v[2:3], 3, v[2:3]
	s_waitcnt lgkmcnt(0)
	v_add_co_u32 v2, s0, v16, v2
	s_delay_alu instid0(VALU_DEP_1)
	v_add_co_ci_u32_e64 v3, s0, v17, v3, s0
	flat_load_b64 v[2:3], v[2:3]
	s_waitcnt vmcnt(0) lgkmcnt(0)
	v_mad_u64_u32 v[16:17], null, 0xa8, v26, v[2:3]
	s_clause 0x1
	flat_load_b64 v[28:29], v[16:17] offset:504
	flat_load_b64 v[32:33], v[16:17] offset:608
	v_add_co_u32 v2, s0, 0x1f8, v16
	s_delay_alu instid0(VALU_DEP_1) | instskip(NEXT) | instid1(VALU_DEP_1)
	v_add_co_ci_u32_e64 v3, s0, 0, v17, s0
	v_dual_cndmask_b32 v26, 0, v2 :: v_dual_cndmask_b32 v27, 0, v3
	s_cbranch_execz .LBB4_20
.LBB4_13:
	s_trap 2
	s_sendmsg_rtn_b32 s0, sendmsg(MSG_RTN_GET_DOORBELL)
	s_mov_b32 ttmp2, m0
	s_waitcnt lgkmcnt(0)
	s_and_b32 s0, s0, 0x3ff
	s_delay_alu instid0(SALU_CYCLE_1) | instskip(NEXT) | instid1(SALU_CYCLE_1)
	s_bitset1_b32 s0, 10
	s_mov_b32 m0, s0
	s_sendmsg sendmsg(MSG_INTERRUPT)
	s_mov_b32 m0, ttmp2
.LBB4_14:                               ; =>This Inner Loop Header: Depth=1
	s_sethalt 5
	s_branch .LBB4_14
.LBB4_15:
	s_trap 2
	s_sendmsg_rtn_b32 s0, sendmsg(MSG_RTN_GET_DOORBELL)
	s_mov_b32 ttmp2, m0
	s_waitcnt lgkmcnt(0)
	s_and_b32 s0, s0, 0x3ff
	s_delay_alu instid0(SALU_CYCLE_1) | instskip(NEXT) | instid1(SALU_CYCLE_1)
	s_bitset1_b32 s0, 10
	s_mov_b32 m0, s0
	s_sendmsg sendmsg(MSG_INTERRUPT)
	s_mov_b32 m0, ttmp2
.LBB4_16:                               ; =>This Inner Loop Header: Depth=1
	s_sethalt 5
	s_branch .LBB4_16
.LBB4_17:
	s_trap 2
	s_sendmsg_rtn_b32 s0, sendmsg(MSG_RTN_GET_DOORBELL)
	s_mov_b32 ttmp2, m0
	s_waitcnt lgkmcnt(0)
	s_and_b32 s0, s0, 0x3ff
	s_delay_alu instid0(SALU_CYCLE_1) | instskip(NEXT) | instid1(SALU_CYCLE_1)
	s_bitset1_b32 s0, 10
	s_mov_b32 m0, s0
	s_sendmsg sendmsg(MSG_INTERRUPT)
	s_mov_b32 m0, ttmp2
.LBB4_18:                               ; =>This Inner Loop Header: Depth=1
	s_sethalt 5
	s_branch .LBB4_18
.LBB4_19:
	v_mov_b32_e32 v26, 0
	v_mov_b32_e32 v27, 0
                                        ; implicit-def: $vgpr32_vgpr33
                                        ; implicit-def: $vgpr28_vgpr29
	s_cbranch_execnz .LBB4_13
.LBB4_20:
	ds_load_b32 v2, v0
	v_mov_b32_e32 v36, 0
	v_mov_b32_e32 v37, 0
	s_waitcnt lgkmcnt(0)
	v_cmp_gt_i32_e32 vcc_lo, 0, v2
	s_cbranch_vccnz .LBB4_25
; %bb.21:
	s_cbranch_execnz .LBB4_249
; %bb.22:
	ds_load_b64 v[16:17], v0
	v_mov_b32_e32 v3, 0
	s_delay_alu instid0(VALU_DEP_1) | instskip(SKIP_1) | instid1(VALU_DEP_1)
	v_lshlrev_b64 v[2:3], 3, v[2:3]
	s_waitcnt lgkmcnt(0)
	v_add_co_u32 v2, vcc_lo, v16, v2
	s_delay_alu instid0(VALU_DEP_2)
	v_add_co_ci_u32_e32 v3, vcc_lo, v17, v3, vcc_lo
	v_and_b32_e32 v17, 0xffff, v15
	v_cmp_eq_u32_e32 vcc_lo, 0, v14
	flat_load_b64 v[2:3], v[2:3]
	s_waitcnt vmcnt(0) lgkmcnt(0)
	v_mad_u64_u32 v[15:16], null, 0xa8, v17, v[2:3]
	s_clause 0x1
	flat_load_b64 v[38:39], v[15:16]
	flat_load_b64 v[98:99], v[15:16] offset:104
	v_dual_cndmask_b32 v34, 0, v15 :: v_dual_cndmask_b32 v35, 0, v16
	s_branch .LBB4_26
.LBB4_23:
	s_trap 2
	s_sendmsg_rtn_b32 s0, sendmsg(MSG_RTN_GET_DOORBELL)
	s_mov_b32 ttmp2, m0
	s_waitcnt lgkmcnt(0)
	s_and_b32 s0, s0, 0x3ff
	s_delay_alu instid0(SALU_CYCLE_1) | instskip(NEXT) | instid1(SALU_CYCLE_1)
	s_bitset1_b32 s0, 10
	s_mov_b32 m0, s0
	s_sendmsg sendmsg(MSG_INTERRUPT)
	s_mov_b32 m0, ttmp2
.LBB4_24:                               ; =>This Inner Loop Header: Depth=1
	s_sethalt 5
	s_branch .LBB4_24
.LBB4_25:
	s_delay_alu instid0(VALU_DEP_2)
	v_dual_mov_b32 v34, v36 :: v_dual_mov_b32 v35, v37
                                        ; implicit-def: $vgpr98_vgpr99
                                        ; implicit-def: $vgpr38_vgpr39
.LBB4_26:
	v_subrev_nc_u32_e32 v2, 32, v1
	v_cmp_gt_i32_e64 s0, s2, v14
                                        ; implicit-def: $vgpr48_vgpr49
	s_delay_alu instid0(VALU_DEP_2) | instskip(NEXT) | instid1(VALU_DEP_2)
	v_cmp_le_i32_e32 vcc_lo, v2, v4
	s_and_b32 s11, vcc_lo, s0
	s_delay_alu instid0(SALU_CYCLE_1)
	s_and_saveexec_b32 s0, s11
; %bb.27:
	s_clause 0x1
	flat_load_b64 v[36:37], v[26:27] offset:56
	flat_load_b64 v[48:49], v[26:27] offset:104
; %bb.28:
	s_or_b32 exec_lo, exec_lo, s0
	v_mov_b32_e32 v2, 0
	v_mov_b32_e32 v3, 0
	v_cmp_gt_i32_e64 s0, s2, v4
                                        ; implicit-def: $vgpr52_vgpr53
	s_delay_alu instid0(VALU_DEP_2) | instskip(SKIP_1) | instid1(VALU_DEP_3)
	v_dual_mov_b32 v15, v3 :: v_dual_mov_b32 v14, v2
	v_dual_mov_b32 v51, v3 :: v_dual_mov_b32 v50, v2
	s_and_saveexec_b32 s2, s0
	s_cbranch_execz .LBB4_30
; %bb.29:
	flat_load_b64 v[50:51], v[34:35] offset:56
	s_waitcnt vmcnt(0) lgkmcnt(0)
	flat_load_b64 v[52:53], v[50:51] glc dlc
	s_waitcnt vmcnt(0)
	flat_load_b128 v[14:17], v[34:35] offset:96
.LBB4_30:
	s_or_b32 exec_lo, exec_lo, s2
	s_waitcnt vmcnt(0)
	v_and_b32_e32 v30, 0xffff, v19
	s_mov_b32 s12, exec_lo
	v_cmpx_ne_u64_e32 0, v[8:9]
	s_cbranch_execz .LBB4_237
; %bb.31:
	v_dual_mov_b32 v55, 0 :: v_dual_and_b32 v64, 0xfffff8, v18
	v_add_co_u32 v2, vcc_lo, v20, v6
	s_ashr_i32 s2, s1, 31
	s_delay_alu instid0(VALU_DEP_2)
	v_dual_mov_b32 v65, v55 :: v_dual_lshlrev_b32 v68, 2, v4
	v_add_co_ci_u32_e32 v3, vcc_lo, v21, v7, vcc_lo
	s_lshr_b32 s2, s2, 29
	s_ashr_i32 s15, s14, 31
	v_add_co_u32 v6, vcc_lo, v2, v54
	v_ashrrev_i32_e32 v69, 31, v68
	s_add_i32 s1, s1, s2
	s_lshl_b64 s[2:3], s[14:15], 2
	v_ashrrev_i32_e32 v2, 31, v1
	v_add_co_ci_u32_e32 v7, vcc_lo, v3, v0, vcc_lo
	v_add_co_u32 v0, vcc_lo, v22, s2
	v_add_co_ci_u32_e32 v3, vcc_lo, s3, v23, vcc_lo
	v_lshlrev_b64 v[80:81], 1, v[68:69]
	v_lshrrev_b32_e32 v19, 27, v2
	s_delay_alu instid0(VALU_DEP_4) | instskip(NEXT) | instid1(VALU_DEP_4)
	v_add_co_u32 v66, vcc_lo, v0, -4
	v_add_co_ci_u32_e32 v67, vcc_lo, -1, v3, vcc_lo
	v_dual_mov_b32 v86, 0 :: v_dual_and_b32 v3, 31, v31
	s_delay_alu instid0(VALU_DEP_4)
	v_dual_mov_b32 v87, 0 :: v_dual_add_nc_u32 v0, v1, v19
	v_add_co_u32 v119, vcc_lo, v12, v80
	v_lshlrev_b64 v[19:20], 1, v[24:25]
	v_add_co_ci_u32_e32 v128, vcc_lo, v13, v81, vcc_lo
	v_add_co_u32 v129, vcc_lo, v10, v80
	v_cmp_eq_u32_e64 s5, 0, v3
	v_dual_mov_b32 v144, 0 :: v_dual_lshlrev_b32 v3, 1, v24
	v_dual_mov_b32 v135, 1 :: v_dual_lshlrev_b32 v70, 2, v1
	v_add_co_ci_u32_e32 v130, vcc_lo, v11, v81, vcc_lo
	v_and_b32_e32 v54, 1, v10
	v_add_co_u32 v10, vcc_lo, v119, v19
	v_ashrrev_i32_e32 v118, 5, v0
	v_lshlrev_b32_e32 v0, 1, v18
	v_add_co_ci_u32_e32 v11, vcc_lo, v128, v20, vcc_lo
	v_lshlrev_b32_e32 v20, 4, v18
	v_lshlrev_b64 v[18:19], 4, v[4:5]
	v_lshl_add_u32 v3, v4, 3, v3
	v_ashrrev_i32_e32 v71, 31, v70
	s_ashr_i32 s4, s1, 3
	v_and_b32_e32 v131, 0x1fffff0, v0
	v_lshlrev_b64 v[96:97], 4, v[1:2]
	v_add_lshl_u32 v0, v3, v12, 3
	v_mov_b32_e32 v2, v86
	s_waitcnt lgkmcnt(1)
	v_add_co_u32 v133, vcc_lo, v38, v18
	s_ashr_i32 s13, s1, 7
	v_cmp_ne_u64_e64 s1, 0, v[50:51]
	s_waitcnt lgkmcnt(0)
	v_cmp_ne_u64_e64 s2, 0, v[14:15]
	v_cmp_ne_u64_e64 s6, 0, v[36:37]
	v_lshlrev_b64 v[82:83], 1, v[6:7]
	v_lshlrev_b64 v[84:85], 1, v[70:71]
	v_mov_b32_e32 v3, v87
	v_cmp_eq_u64_e64 s7, 0, v[54:55]
	s_and_b32 s15, s4, -16
	v_cmp_ne_u32_e64 s3, 32, v1
	v_cmp_ne_u32_e64 s4, v30, v1
	v_ashrrev_i32_e32 v69, 31, v118
	v_and_b32_e32 v5, 0xfffff80, v20
	v_lshlrev_b32_e32 v71, 4, v6
	v_lshlrev_b32_e32 v132, 6, v1
	v_add_co_ci_u32_e32 v134, vcc_lo, v39, v19, vcc_lo
	s_cmp_gt_i32 s14, 2
	s_mov_b32 s16, 0
	s_cselect_b32 s17, -1, 0
.LBB4_32:                               ; =>This Loop Header: Depth=1
                                        ;     Child Loop BB4_39 Depth 2
                                        ;     Child Loop BB4_59 Depth 2
	;; [unrolled: 1-line block ×5, first 2 shown]
                                        ;       Child Loop BB4_92 Depth 3
                                        ;       Child Loop BB4_112 Depth 3
	;; [unrolled: 1-line block ×3, first 2 shown]
                                        ;         Child Loop BB4_138 Depth 4
                                        ;       Child Loop BB4_160 Depth 3
                                        ;       Child Loop BB4_177 Depth 3
                                        ;     Child Loop BB4_182 Depth 2
                                        ;       Child Loop BB4_190 Depth 3
                                        ;     Child Loop BB4_220 Depth 2
	s_waitcnt vmcnt(0) lgkmcnt(0)
	flat_load_b32 v20, v[66:67]
	v_sub_co_u32 v18, vcc_lo, v8, v86
	v_sub_co_ci_u32_e32 v19, vcc_lo, v9, v87, vcc_lo
	s_delay_alu instid0(VALU_DEP_1) | instskip(SKIP_1) | instid1(VALU_DEP_1)
	v_cmp_lt_u64_e32 vcc_lo, v[64:65], v[18:19]
	v_cndmask_b32_e32 v21, v18, v64, vcc_lo
	v_lshl_add_u32 v18, v21, 2, 12
	s_delay_alu instid0(VALU_DEP_1)
	v_and_b32_e32 v146, 0x7fffff0, v18
	s_and_saveexec_b32 s8, s1
	s_cbranch_execz .LBB4_50
; %bb.33:                               ;   in Loop: Header=BB4_32 Depth=1
	v_add_co_u32 v18, vcc_lo, v16, 1
	v_add_co_ci_u32_e32 v19, vcc_lo, 0, v17, vcc_lo
	v_add_co_u32 v100, vcc_lo, v52, 8
	v_add_co_ci_u32_e32 v101, vcc_lo, 0, v53, vcc_lo
	s_mov_b32 s9, exec_lo
	s_delay_alu instid0(VALU_DEP_1)
	v_cmpx_lt_u64_e64 v[100:101], v[18:19]
	s_cbranch_execz .LBB4_47
; %bb.34:                               ;   in Loop: Header=BB4_32 Depth=1
	s_sleep 1
	flat_load_b64 v[52:53], v[50:51] glc
	v_cmp_eq_u32_e32 vcc_lo, 0, v144
	s_and_saveexec_b32 s10, vcc_lo
	s_cbranch_execz .LBB4_46
; %bb.35:                               ;   in Loop: Header=BB4_32 Depth=1
	v_cndmask_b32_e64 v17, 0, 1, vcc_lo
	s_mov_b32 s18, 0
                                        ; implicit-def: $sgpr19
	s_branch .LBB4_39
.LBB4_36:                               ;   in Loop: Header=BB4_39 Depth=2
	s_or_b32 exec_lo, exec_lo, s22
	s_delay_alu instid0(SALU_CYCLE_1)
	s_or_not1_b32 s22, s23, exec_lo
.LBB4_37:                               ;   in Loop: Header=BB4_39 Depth=2
	s_or_b32 exec_lo, exec_lo, s21
	s_xor_b32 s21, s22, -1
	s_and_not1_b32 s19, s19, exec_lo
	s_and_b32 s21, s21, exec_lo
	s_delay_alu instid0(SALU_CYCLE_1)
	s_or_b32 s19, s19, s21
.LBB4_38:                               ;   in Loop: Header=BB4_39 Depth=2
	s_or_b32 exec_lo, exec_lo, s20
	s_delay_alu instid0(SALU_CYCLE_1) | instskip(NEXT) | instid1(SALU_CYCLE_1)
	s_and_b32 s20, exec_lo, s19
	s_or_b32 s18, s20, s18
	s_delay_alu instid0(SALU_CYCLE_1)
	s_and_not1_b32 exec_lo, exec_lo, s18
	s_cbranch_execz .LBB4_45
.LBB4_39:                               ;   Parent Loop BB4_32 Depth=1
                                        ; =>  This Inner Loop Header: Depth=2
	s_waitcnt vmcnt(0) lgkmcnt(0)
	v_add_co_u32 v100, vcc_lo, v52, 8
	v_add_co_ci_u32_e32 v101, vcc_lo, 0, v53, vcc_lo
	v_mov_b32_e32 v144, 0
	s_or_b32 s19, s19, exec_lo
	s_mov_b32 s20, exec_lo
	s_delay_alu instid0(VALU_DEP_2)
	v_cmpx_lt_u64_e64 v[100:101], v[18:19]
	s_cbranch_execz .LBB4_38
; %bb.40:                               ;   in Loop: Header=BB4_39 Depth=2
	s_sleep 1
	flat_load_b64 v[52:53], v[50:51] glc
	v_dual_mov_b32 v144, 0 :: v_dual_add_nc_u32 v17, 1, v17
	s_mov_b32 s22, -1
	s_mov_b32 s21, exec_lo
	s_delay_alu instid0(VALU_DEP_1)
	v_cmpx_eq_u32_e32 0x2710, v17
	s_cbranch_execz .LBB4_37
; %bb.41:                               ;   in Loop: Header=BB4_39 Depth=2
	s_cbranch_execnz .LBB4_255
; %bb.42:                               ;   in Loop: Header=BB4_39 Depth=2
	ds_load_b64 v[100:101], v0
	v_dual_mov_b32 v17, 0 :: v_dual_mov_b32 v144, 0
	s_mov_b32 s23, -1
	s_mov_b32 s22, exec_lo
	s_waitcnt vmcnt(0) lgkmcnt(0)
	s_waitcnt_vscnt null, 0x0
	flat_load_b32 v54, v[100:101] glc
	s_waitcnt vmcnt(0) lgkmcnt(0)
	buffer_gl1_inv
	buffer_gl0_inv
	v_cmpx_ne_u32_e32 0, v54
	s_cbranch_execz .LBB4_36
; %bb.43:                               ;   in Loop: Header=BB4_39 Depth=2
	ds_store_b32 v0, v54
	s_cbranch_execnz .LBB4_280
; %bb.44:                               ;   in Loop: Header=BB4_39 Depth=2
	v_mov_b32_e32 v144, 1
	s_xor_b32 s23, exec_lo, -1
	s_branch .LBB4_36
.LBB4_45:                               ;   in Loop: Header=BB4_32 Depth=1
	s_or_b32 exec_lo, exec_lo, s18
.LBB4_46:                               ;   in Loop: Header=BB4_32 Depth=1
	s_delay_alu instid0(SALU_CYCLE_1)
	s_or_b32 exec_lo, exec_lo, s10
.LBB4_47:                               ;   in Loop: Header=BB4_32 Depth=1
	s_delay_alu instid0(SALU_CYCLE_1)
	s_or_b32 exec_lo, exec_lo, s9
	s_and_saveexec_b32 s9, s2
	s_cbranch_execz .LBB4_49
; %bb.48:                               ;   in Loop: Header=BB4_32 Depth=1
	v_and_b32_e32 v54, 0x7ffffff8, v16
	v_and_b32_e32 v17, 7, v16
	s_delay_alu instid0(VALU_DEP_2) | instskip(NEXT) | instid1(VALU_DEP_2)
	v_cmp_eq_u64_e32 vcc_lo, 0x7ffffff8, v[54:55]
	v_mad_u64_u32 v[100:101], null, v17, 24, v[14:15]
	v_cndmask_b32_e64 v16, v146, s15, vcc_lo
	s_delay_alu instid0(VALU_DEP_1)
	v_ashrrev_i32_e32 v17, 31, v16
	flat_store_b64 v[100:101], v[16:17] offset:8 dlc
	s_waitcnt_vscnt null, 0x0
.LBB4_49:                               ;   in Loop: Header=BB4_32 Depth=1
	s_or_b32 exec_lo, exec_lo, s9
	v_dual_mov_b32 v16, v18 :: v_dual_mov_b32 v17, v19
.LBB4_50:                               ;   in Loop: Header=BB4_32 Depth=1
	s_or_b32 exec_lo, exec_lo, s8
	s_and_saveexec_b32 s8, s3
	s_cbranch_execz .LBB4_72
; %bb.51:                               ;   in Loop: Header=BB4_32 Depth=1
	s_and_saveexec_b32 s9, s4
	s_delay_alu instid0(SALU_CYCLE_1)
	s_xor_b32 s9, exec_lo, s9
	s_cbranch_execz .LBB4_69
; %bb.52:                               ;   in Loop: Header=BB4_32 Depth=1
	s_and_saveexec_b32 s10, s5
	s_cbranch_execz .LBB4_68
; %bb.53:                               ;   in Loop: Header=BB4_32 Depth=1
	s_mov_b32 s19, exec_lo
	s_mov_b32 s18, exec_lo
	v_mbcnt_lo_u32_b32 v18, s19, 0
	s_waitcnt vmcnt(0) lgkmcnt(0)
	s_waitcnt_vscnt null, 0x0
	buffer_gl1_inv
	buffer_gl0_inv
	v_cmpx_eq_u32_e32 0, v18
	s_cbranch_execz .LBB4_55
; %bb.54:                               ;   in Loop: Header=BB4_32 Depth=1
	s_bcnt1_i32_b32 s19, s19
	s_delay_alu instid0(SALU_CYCLE_1)
	v_mov_b32_e32 v54, s19
	ds_add_u64 v0, v[54:55]
	s_cbranch_execnz .LBB4_274
.LBB4_55:                               ;   in Loop: Header=BB4_32 Depth=1
	s_or_b32 exec_lo, exec_lo, s18
	s_cbranch_execnz .LBB4_261
; %bb.56:                               ;   in Loop: Header=BB4_32 Depth=1
	ds_load_b64 v[18:19], v0
	v_add_co_u32 v2, vcc_lo, v2, v118
	v_add_co_ci_u32_e32 v3, vcc_lo, v3, v69, vcc_lo
	s_mov_b32 s18, exec_lo
	s_waitcnt lgkmcnt(0)
	s_delay_alu instid0(VALU_DEP_1)
	v_cmpx_lt_u64_e64 v[18:19], v[2:3]
	s_cbranch_execz .LBB4_67
; %bb.57:                               ;   in Loop: Header=BB4_32 Depth=1
	s_mov_b32 s19, 0
	s_mov_b32 s22, 0
                                        ; implicit-def: $sgpr20
                                        ; implicit-def: $sgpr21
	s_branch .LBB4_59
.LBB4_58:                               ;   in Loop: Header=BB4_59 Depth=2
	s_or_b32 exec_lo, exec_lo, s25
	s_delay_alu instid0(SALU_CYCLE_1) | instskip(NEXT) | instid1(SALU_CYCLE_1)
	s_and_b32 s23, exec_lo, s24
	s_or_b32 s19, s23, s19
	s_and_not1_b32 s20, s20, exec_lo
	s_and_b32 s23, s21, exec_lo
	s_delay_alu instid0(SALU_CYCLE_1)
	s_or_b32 s20, s20, s23
	s_and_not1_b32 exec_lo, exec_lo, s19
	s_cbranch_execz .LBB4_65
.LBB4_59:                               ;   Parent Loop BB4_32 Depth=1
                                        ; =>  This Inner Loop Header: Depth=2
	s_add_i32 s22, s22, 1
                                        ; implicit-def: $sgpr24
	s_delay_alu instid0(SALU_CYCLE_1) | instskip(SKIP_1) | instid1(SALU_CYCLE_1)
	s_cmpk_lg_i32 s22, 0x2710
	s_cselect_b32 s23, -1, 0
	s_and_b32 vcc_lo, exec_lo, s23
	s_cbranch_vccz .LBB4_63
.LBB4_60:                               ;   in Loop: Header=BB4_59 Depth=2
	s_and_not1_b32 s21, s21, exec_lo
	s_and_b32 s25, s24, exec_lo
	s_mov_b32 s24, -1
	s_or_b32 s21, s21, s25
	s_and_saveexec_b32 s25, s23
	s_cbranch_execz .LBB4_58
; %bb.61:                               ;   in Loop: Header=BB4_59 Depth=2
	s_sleep 1
	s_cbranch_execnz .LBB4_288
; %bb.62:                               ;   in Loop: Header=BB4_59 Depth=2
	ds_load_b64 v[18:19], v0
	s_and_not1_b32 s21, s21, exec_lo
	s_waitcnt lgkmcnt(0)
	v_cmp_ge_u64_e32 vcc_lo, v[18:19], v[2:3]
	s_or_not1_b32 s24, vcc_lo, exec_lo
	s_branch .LBB4_58
.LBB4_63:                               ;   in Loop: Header=BB4_59 Depth=2
	s_cbranch_execnz .LBB4_296
; %bb.64:                               ;   in Loop: Header=BB4_59 Depth=2
	ds_load_b64 v[18:19], v0
	s_and_not1_b32 s23, s23, exec_lo
	s_mov_b32 s22, 0
	s_mov_b32 s24, -1
	s_waitcnt lgkmcnt(0)
	flat_load_b32 v18, v[18:19] glc
	s_waitcnt vmcnt(0) lgkmcnt(0)
	buffer_gl1_inv
	buffer_gl0_inv
	v_cmp_eq_u32_e32 vcc_lo, 0, v18
	s_and_b32 s25, vcc_lo, exec_lo
	s_delay_alu instid0(SALU_CYCLE_1)
	s_or_b32 s23, s23, s25
	s_branch .LBB4_60
.LBB4_65:                               ;   in Loop: Header=BB4_32 Depth=1
	s_or_b32 exec_lo, exec_lo, s19
	s_and_saveexec_b32 s19, s20
	s_delay_alu instid0(SALU_CYCLE_1)
	s_xor_b32 s19, exec_lo, s19
	s_cbranch_execz .LBB4_67
; %bb.66:                               ;   in Loop: Header=BB4_32 Depth=1
	ds_store_b32 v0, v135
	s_cbranch_execnz .LBB4_321
.LBB4_67:                               ;   in Loop: Header=BB4_32 Depth=1
	s_or_b32 exec_lo, exec_lo, s18
	;;#ASMSTART
	s_wakeup
	;;#ASMEND
.LBB4_68:                               ;   in Loop: Header=BB4_32 Depth=1
	s_or_b32 exec_lo, exec_lo, s10
.LBB4_69:                               ;   in Loop: Header=BB4_32 Depth=1
	s_and_not1_saveexec_b32 s9, s9
	s_cbranch_execz .LBB4_71
; %bb.70:                               ;   in Loop: Header=BB4_32 Depth=1
	s_waitcnt vmcnt(0) lgkmcnt(0)
	s_waitcnt_vscnt null, 0x0
	buffer_gl1_inv
	buffer_gl0_inv
	s_barrier
.LBB4_71:                               ;   in Loop: Header=BB4_32 Depth=1
	s_or_b32 exec_lo, exec_lo, s9
.LBB4_72:                               ;   in Loop: Header=BB4_32 Depth=1
	s_delay_alu instid0(SALU_CYCLE_1) | instskip(SKIP_2) | instid1(VALU_DEP_2)
	s_or_b32 exec_lo, exec_lo, s8
	v_sub_nc_u32_e32 v145, v21, v68
	v_mov_b32_e32 v100, v4
	v_cmp_lt_i32_e64 s8, 0, v145
	s_delay_alu instid0(VALU_DEP_1)
	s_and_saveexec_b32 s10, s8
	s_cbranch_execz .LBB4_80
; %bb.73:                               ;   in Loop: Header=BB4_32 Depth=1
	v_and_b32_e32 v18, 7, v98
	s_waitcnt vmcnt(0) lgkmcnt(0)
	v_ashrrev_i32_e32 v21, 31, v20
	v_mov_b32_e32 v100, v98
	v_mad_u64_u32 v[101:102], null, v82, v20, v[10:11]
	v_mul_lo_u32 v18, v18, s13
	v_mul_lo_u32 v114, v83, v20
	v_mul_lo_u32 v115, v82, v21
	v_mad_u64_u32 v[112:113], null, v71, v20, v[0:1]
	v_add_co_u32 v103, vcc_lo, 0, 0
	v_mov_b32_e32 v54, v145
	v_ashrrev_i32_e32 v19, 31, v18
	s_mov_b32 s18, 0
	v_add3_u32 v102, v114, v102, v115
	s_delay_alu instid0(VALU_DEP_2) | instskip(SKIP_2) | instid1(VALU_DEP_3)
	v_lshlrev_b64 v[20:21], 4, v[18:19]
	v_add_co_ci_u32_e32 v19, vcc_lo, 1, v100, vcc_lo
	v_mov_b32_e32 v100, v4
	v_add_co_u32 v113, vcc_lo, v133, v20
	s_delay_alu instid0(VALU_DEP_4)
	v_add_co_ci_u32_e32 v114, vcc_lo, v134, v21, vcc_lo
	s_branch .LBB4_75
.LBB4_74:                               ;   in Loop: Header=BB4_75 Depth=2
	s_or_b32 exec_lo, exec_lo, s9
	s_waitcnt vmcnt(0) lgkmcnt(0)
	v_alignbit_b32 v18, v147, v18, v112
	v_alignbit_b32 v20, v117, v147, v112
	v_dual_mov_b32 v21, v19 :: v_dual_add_nc_u32 v100, v100, v1
	v_sub_nc_u32_e32 v54, v54, v70
	s_delay_alu instid0(VALU_DEP_4) | instskip(NEXT) | instid1(VALU_DEP_4)
	v_or_b32_e32 v18, v103, v18
	v_or_b32_e32 v20, v103, v20
	v_add_co_u32 v101, vcc_lo, v101, v84
	v_add_co_ci_u32_e32 v102, vcc_lo, v102, v85, vcc_lo
	global_store_b128 v[113:114], v[18:21], off
	v_cmp_gt_i32_e32 vcc_lo, 1, v54
	v_add_co_u32 v113, s9, v113, v96
	v_add_nc_u32_e32 v112, v112, v132
	v_add_co_ci_u32_e64 v114, s9, v114, v97, s9
	s_or_b32 s18, vcc_lo, s18
	s_delay_alu instid0(SALU_CYCLE_1)
	s_and_not1_b32 exec_lo, exec_lo, s18
	s_cbranch_execz .LBB4_79
.LBB4_75:                               ;   Parent Loop BB4_32 Depth=1
                                        ; =>  This Inner Loop Header: Depth=2
	v_dual_mov_b32 v21, v102 :: v_dual_and_b32 v20, -4, v101
	v_min_u32_e32 v115, 4, v54
	v_dual_mov_b32 v117, 0 :: v_dual_and_b32 v116, 3, v101
	v_mov_b32_e32 v147, 0
	flat_load_b32 v18, v[20:21] glc
	v_lshlrev_b32_e32 v115, 1, v115
	s_delay_alu instid0(VALU_DEP_1) | instskip(NEXT) | instid1(VALU_DEP_1)
	v_add_co_u32 v115, s9, v116, v115
	v_add_co_ci_u32_e64 v116, null, 0, 0, s9
	s_mov_b32 s9, exec_lo
	s_delay_alu instid0(VALU_DEP_1)
	v_cmpx_lt_u64_e32 4, v[115:116]
	s_cbranch_execz .LBB4_77
; %bb.76:                               ;   in Loop: Header=BB4_75 Depth=2
	flat_load_b32 v147, v[20:21] offset:4 glc
.LBB4_77:                               ;   in Loop: Header=BB4_75 Depth=2
	s_or_b32 exec_lo, exec_lo, s9
	s_delay_alu instid0(SALU_CYCLE_1)
	s_mov_b32 s9, exec_lo
	v_cmpx_lt_u64_e32 8, v[115:116]
	s_cbranch_execz .LBB4_74
; %bb.78:                               ;   in Loop: Header=BB4_75 Depth=2
	flat_load_b32 v117, v[20:21] offset:8 glc
	s_branch .LBB4_74
.LBB4_79:                               ;   in Loop: Header=BB4_32 Depth=1
	s_or_b32 exec_lo, exec_lo, s18
.LBB4_80:                               ;   in Loop: Header=BB4_32 Depth=1
	s_delay_alu instid0(SALU_CYCLE_1) | instskip(SKIP_2) | instid1(VALU_DEP_2)
	s_or_b32 exec_lo, exec_lo, s10
	v_and_b32_e32 v54, 0x7ffffff8, v98
	v_cmp_gt_i32_e64 s9, s13, v100
	v_cmp_eq_u64_e32 vcc_lo, 0x7ffffff8, v[54:55]
	s_delay_alu instid0(VALU_DEP_2) | instskip(NEXT) | instid1(SALU_CYCLE_1)
	s_and_b32 s9, vcc_lo, s9
	s_and_saveexec_b32 s10, s9
	s_cbranch_execz .LBB4_83
; %bb.81:                               ;   in Loop: Header=BB4_32 Depth=1
	v_and_b32_e32 v18, 7, v98
	v_ashrrev_i32_e32 v101, 31, v100
	v_mov_b32_e32 v54, v98
	s_mov_b32 s18, 0
	s_delay_alu instid0(VALU_DEP_3) | instskip(SKIP_2) | instid1(VALU_DEP_2)
	v_mul_lo_u32 v18, v18, s13
	s_waitcnt vmcnt(0) lgkmcnt(0)
	v_lshlrev_b64 v[20:21], 4, v[100:101]
	v_ashrrev_i32_e32 v19, 31, v18
	s_delay_alu instid0(VALU_DEP_1) | instskip(NEXT) | instid1(VALU_DEP_1)
	v_lshlrev_b64 v[18:19], 4, v[18:19]
	v_add_co_u32 v20, vcc_lo, v20, v18
	s_delay_alu instid0(VALU_DEP_2) | instskip(SKIP_2) | instid1(VALU_DEP_4)
	v_add_co_ci_u32_e32 v21, vcc_lo, v21, v19, vcc_lo
	v_add_co_u32 v18, vcc_lo, 0, 0
	v_add_co_ci_u32_e32 v19, vcc_lo, 1, v54, vcc_lo
	v_add_co_u32 v101, vcc_lo, v38, v20
	s_delay_alu instid0(VALU_DEP_4)
	v_add_co_ci_u32_e32 v102, vcc_lo, v39, v21, vcc_lo
.LBB4_82:                               ;   Parent Loop BB4_32 Depth=1
                                        ; =>  This Inner Loop Header: Depth=2
	s_delay_alu instid0(VALU_DEP_3) | instskip(SKIP_4) | instid1(VALU_DEP_1)
	v_dual_mov_b32 v20, v18 :: v_dual_mov_b32 v21, v19
	v_add_nc_u32_e32 v100, v100, v1
	global_store_b128 v[101:102], v[18:21], off
	v_cmp_le_i32_e32 vcc_lo, s13, v100
	v_add_co_u32 v101, s9, v101, v96
	v_add_co_ci_u32_e64 v102, s9, v102, v97, s9
	s_or_b32 s18, vcc_lo, s18
	s_delay_alu instid0(SALU_CYCLE_1)
	s_and_not1_b32 exec_lo, exec_lo, s18
	s_cbranch_execnz .LBB4_82
.LBB4_83:                               ;   in Loop: Header=BB4_32 Depth=1
	s_or_b32 exec_lo, exec_lo, s10
	v_add_co_u32 v100, vcc_lo, v86, v24
	v_add_co_ci_u32_e32 v101, vcc_lo, v87, v25, vcc_lo
	v_add_co_u32 v102, vcc_lo, v98, 1
	v_add_co_ci_u32_e32 v103, vcc_lo, 0, v99, vcc_lo
	s_and_not1_b32 vcc_lo, exec_lo, s17
	s_cbranch_vccnz .LBB4_179
; %bb.84:                               ;   in Loop: Header=BB4_32 Depth=1
	v_lshlrev_b64 v[18:19], 1, v[100:101]
	v_add_nc_u16 v149, v98, 1
	s_mov_b32 s18, 2
	s_delay_alu instid0(VALU_DEP_2) | instskip(NEXT) | instid1(VALU_DEP_3)
	v_add_co_u32 v147, vcc_lo, v119, v18
	v_add_co_ci_u32_e32 v148, vcc_lo, v128, v19, vcc_lo
.LBB4_85:                               ;   Parent Loop BB4_32 Depth=1
                                        ; =>  This Loop Header: Depth=2
                                        ;       Child Loop BB4_92 Depth 3
                                        ;       Child Loop BB4_112 Depth 3
	;; [unrolled: 1-line block ×3, first 2 shown]
                                        ;         Child Loop BB4_138 Depth 4
                                        ;       Child Loop BB4_160 Depth 3
                                        ;       Child Loop BB4_177 Depth 3
	s_sub_i32 s20, s14, s18
	s_delay_alu instid0(SALU_CYCLE_1) | instskip(NEXT) | instid1(SALU_CYCLE_1)
	s_ashr_i32 s21, s20, 31
	s_lshl_b64 s[20:21], s[20:21], 2
	s_delay_alu instid0(SALU_CYCLE_1)
	v_add_co_u32 v18, vcc_lo, v22, s20
	v_add_co_ci_u32_e32 v19, vcc_lo, s21, v23, vcc_lo
	s_waitcnt vmcnt(0) lgkmcnt(0)
	flat_load_b32 v20, v[18:19]
	s_and_saveexec_b32 s9, s1
	s_cbranch_execz .LBB4_103
; %bb.86:                               ;   in Loop: Header=BB4_85 Depth=2
	v_add_co_u32 v18, vcc_lo, v16, 1
	v_add_co_ci_u32_e32 v19, vcc_lo, 0, v17, vcc_lo
	v_add_co_u32 v98, vcc_lo, v52, 8
	v_add_co_ci_u32_e32 v99, vcc_lo, 0, v53, vcc_lo
	s_mov_b32 s10, exec_lo
	s_delay_alu instid0(VALU_DEP_1)
	v_cmpx_lt_u64_e64 v[98:99], v[18:19]
	s_cbranch_execz .LBB4_100
; %bb.87:                               ;   in Loop: Header=BB4_85 Depth=2
	s_sleep 1
	flat_load_b64 v[52:53], v[50:51] glc
	v_cmp_eq_u32_e32 vcc_lo, 0, v144
	s_and_saveexec_b32 s19, vcc_lo
	s_cbranch_execz .LBB4_99
; %bb.88:                               ;   in Loop: Header=BB4_85 Depth=2
	v_cndmask_b32_e64 v17, 0, 1, vcc_lo
	s_mov_b32 s20, 0
                                        ; implicit-def: $sgpr21
	s_branch .LBB4_92
.LBB4_89:                               ;   in Loop: Header=BB4_92 Depth=3
	s_or_b32 exec_lo, exec_lo, s24
	s_delay_alu instid0(SALU_CYCLE_1)
	s_or_not1_b32 s24, s25, exec_lo
.LBB4_90:                               ;   in Loop: Header=BB4_92 Depth=3
	s_or_b32 exec_lo, exec_lo, s23
	s_xor_b32 s23, s24, -1
	s_and_not1_b32 s21, s21, exec_lo
	s_and_b32 s23, s23, exec_lo
	s_delay_alu instid0(SALU_CYCLE_1)
	s_or_b32 s21, s21, s23
.LBB4_91:                               ;   in Loop: Header=BB4_92 Depth=3
	s_or_b32 exec_lo, exec_lo, s22
	s_delay_alu instid0(SALU_CYCLE_1) | instskip(NEXT) | instid1(SALU_CYCLE_1)
	s_and_b32 s22, exec_lo, s21
	s_or_b32 s20, s22, s20
	s_delay_alu instid0(SALU_CYCLE_1)
	s_and_not1_b32 exec_lo, exec_lo, s20
	s_cbranch_execz .LBB4_98
.LBB4_92:                               ;   Parent Loop BB4_32 Depth=1
                                        ;     Parent Loop BB4_85 Depth=2
                                        ; =>    This Inner Loop Header: Depth=3
	s_waitcnt vmcnt(0) lgkmcnt(0)
	v_add_co_u32 v98, vcc_lo, v52, 8
	v_add_co_ci_u32_e32 v99, vcc_lo, 0, v53, vcc_lo
	v_mov_b32_e32 v144, 0
	s_or_b32 s21, s21, exec_lo
	s_mov_b32 s22, exec_lo
	s_delay_alu instid0(VALU_DEP_2)
	v_cmpx_lt_u64_e64 v[98:99], v[18:19]
	s_cbranch_execz .LBB4_91
; %bb.93:                               ;   in Loop: Header=BB4_92 Depth=3
	s_sleep 1
	flat_load_b64 v[52:53], v[50:51] glc
	v_dual_mov_b32 v144, 0 :: v_dual_add_nc_u32 v17, 1, v17
	s_mov_b32 s24, -1
	s_mov_b32 s23, exec_lo
	s_delay_alu instid0(VALU_DEP_1)
	v_cmpx_eq_u32_e32 0x2710, v17
	s_cbranch_execz .LBB4_90
; %bb.94:                               ;   in Loop: Header=BB4_92 Depth=3
	s_cbranch_execnz .LBB4_257
; %bb.95:                               ;   in Loop: Header=BB4_92 Depth=3
	ds_load_b64 v[98:99], v0
	v_dual_mov_b32 v17, 0 :: v_dual_mov_b32 v144, 0
	s_mov_b32 s25, -1
	s_mov_b32 s24, exec_lo
	s_waitcnt vmcnt(0) lgkmcnt(0)
	s_waitcnt_vscnt null, 0x0
	flat_load_b32 v21, v[98:99] glc
	s_waitcnt vmcnt(0) lgkmcnt(0)
	buffer_gl1_inv
	buffer_gl0_inv
	v_cmpx_ne_u32_e32 0, v21
	s_cbranch_execz .LBB4_89
; %bb.96:                               ;   in Loop: Header=BB4_92 Depth=3
	ds_store_b32 v0, v21
	s_cbranch_execnz .LBB4_284
; %bb.97:                               ;   in Loop: Header=BB4_92 Depth=3
	v_mov_b32_e32 v144, 1
	s_xor_b32 s25, exec_lo, -1
	s_branch .LBB4_89
.LBB4_98:                               ;   in Loop: Header=BB4_85 Depth=2
	s_or_b32 exec_lo, exec_lo, s20
.LBB4_99:                               ;   in Loop: Header=BB4_85 Depth=2
	s_delay_alu instid0(SALU_CYCLE_1)
	s_or_b32 exec_lo, exec_lo, s19
.LBB4_100:                              ;   in Loop: Header=BB4_85 Depth=2
	s_delay_alu instid0(SALU_CYCLE_1)
	s_or_b32 exec_lo, exec_lo, s10
	s_and_saveexec_b32 s10, s2
	s_cbranch_execz .LBB4_102
; %bb.101:                              ;   in Loop: Header=BB4_85 Depth=2
	v_and_b32_e32 v54, 0x7ffffff8, v16
	v_and_b32_e32 v17, 7, v16
	s_delay_alu instid0(VALU_DEP_2) | instskip(NEXT) | instid1(VALU_DEP_2)
	v_cmp_eq_u64_e32 vcc_lo, 0x7ffffff8, v[54:55]
	v_mad_u64_u32 v[98:99], null, v17, 24, v[14:15]
	v_cndmask_b32_e64 v16, v146, s15, vcc_lo
	s_delay_alu instid0(VALU_DEP_1)
	v_ashrrev_i32_e32 v17, 31, v16
	flat_store_b64 v[98:99], v[16:17] offset:8 dlc
	s_waitcnt_vscnt null, 0x0
.LBB4_102:                              ;   in Loop: Header=BB4_85 Depth=2
	s_or_b32 exec_lo, exec_lo, s10
	v_dual_mov_b32 v16, v18 :: v_dual_mov_b32 v17, v19
.LBB4_103:                              ;   in Loop: Header=BB4_85 Depth=2
	s_or_b32 exec_lo, exec_lo, s9
	s_and_saveexec_b32 s9, s3
	s_cbranch_execz .LBB4_125
; %bb.104:                              ;   in Loop: Header=BB4_85 Depth=2
	s_and_saveexec_b32 s10, s4
	s_delay_alu instid0(SALU_CYCLE_1)
	s_xor_b32 s10, exec_lo, s10
	s_cbranch_execz .LBB4_122
; %bb.105:                              ;   in Loop: Header=BB4_85 Depth=2
	s_and_saveexec_b32 s19, s5
	s_cbranch_execz .LBB4_121
; %bb.106:                              ;   in Loop: Header=BB4_85 Depth=2
	s_mov_b32 s21, exec_lo
	s_mov_b32 s20, exec_lo
	v_mbcnt_lo_u32_b32 v18, s21, 0
	s_waitcnt vmcnt(0) lgkmcnt(0)
	s_waitcnt_vscnt null, 0x0
	buffer_gl1_inv
	buffer_gl0_inv
	v_cmpx_eq_u32_e32 0, v18
	s_cbranch_execz .LBB4_108
; %bb.107:                              ;   in Loop: Header=BB4_85 Depth=2
	s_bcnt1_i32_b32 s21, s21
	s_delay_alu instid0(SALU_CYCLE_1)
	v_mov_b32_e32 v54, s21
	ds_add_u64 v0, v[54:55]
	s_cbranch_execnz .LBB4_282
.LBB4_108:                              ;   in Loop: Header=BB4_85 Depth=2
	s_or_b32 exec_lo, exec_lo, s20
	s_cbranch_execnz .LBB4_276
; %bb.109:                              ;   in Loop: Header=BB4_85 Depth=2
	ds_load_b64 v[18:19], v0
	v_add_co_u32 v2, vcc_lo, v2, v118
	v_add_co_ci_u32_e32 v3, vcc_lo, v3, v69, vcc_lo
	s_mov_b32 s20, exec_lo
	s_waitcnt lgkmcnt(0)
	s_delay_alu instid0(VALU_DEP_1)
	v_cmpx_lt_u64_e64 v[18:19], v[2:3]
	s_cbranch_execz .LBB4_120
; %bb.110:                              ;   in Loop: Header=BB4_85 Depth=2
	s_mov_b32 s21, 0
	s_mov_b32 s24, 0
                                        ; implicit-def: $sgpr22
                                        ; implicit-def: $sgpr23
	s_branch .LBB4_112
.LBB4_111:                              ;   in Loop: Header=BB4_112 Depth=3
	s_or_b32 exec_lo, exec_lo, s27
	s_delay_alu instid0(SALU_CYCLE_1) | instskip(NEXT) | instid1(SALU_CYCLE_1)
	s_and_b32 s25, exec_lo, s26
	s_or_b32 s21, s25, s21
	s_and_not1_b32 s22, s22, exec_lo
	s_and_b32 s25, s23, exec_lo
	s_delay_alu instid0(SALU_CYCLE_1)
	s_or_b32 s22, s22, s25
	s_and_not1_b32 exec_lo, exec_lo, s21
	s_cbranch_execz .LBB4_118
.LBB4_112:                              ;   Parent Loop BB4_32 Depth=1
                                        ;     Parent Loop BB4_85 Depth=2
                                        ; =>    This Inner Loop Header: Depth=3
	s_add_i32 s24, s24, 1
                                        ; implicit-def: $sgpr26
	s_delay_alu instid0(SALU_CYCLE_1) | instskip(SKIP_1) | instid1(SALU_CYCLE_1)
	s_cmpk_lg_i32 s24, 0x2710
	s_cselect_b32 s25, -1, 0
	s_and_b32 vcc_lo, exec_lo, s25
	s_cbranch_vccz .LBB4_116
.LBB4_113:                              ;   in Loop: Header=BB4_112 Depth=3
	s_and_not1_b32 s23, s23, exec_lo
	s_and_b32 s27, s26, exec_lo
	s_mov_b32 s26, -1
	s_or_b32 s23, s23, s27
	s_and_saveexec_b32 s27, s25
	s_cbranch_execz .LBB4_111
; %bb.114:                              ;   in Loop: Header=BB4_112 Depth=3
	s_sleep 1
	s_cbranch_execnz .LBB4_300
; %bb.115:                              ;   in Loop: Header=BB4_112 Depth=3
	ds_load_b64 v[18:19], v0
	s_and_not1_b32 s23, s23, exec_lo
	s_waitcnt lgkmcnt(0)
	v_cmp_ge_u64_e32 vcc_lo, v[18:19], v[2:3]
	s_or_not1_b32 s26, vcc_lo, exec_lo
	s_branch .LBB4_111
.LBB4_116:                              ;   in Loop: Header=BB4_112 Depth=3
	s_cbranch_execnz .LBB4_304
; %bb.117:                              ;   in Loop: Header=BB4_112 Depth=3
	ds_load_b64 v[18:19], v0
	s_and_not1_b32 s25, s25, exec_lo
	s_mov_b32 s24, 0
	s_mov_b32 s26, -1
	s_waitcnt lgkmcnt(0)
	flat_load_b32 v18, v[18:19] glc
	s_waitcnt vmcnt(0) lgkmcnt(0)
	buffer_gl1_inv
	buffer_gl0_inv
	v_cmp_eq_u32_e32 vcc_lo, 0, v18
	s_and_b32 s27, vcc_lo, exec_lo
	s_delay_alu instid0(SALU_CYCLE_1)
	s_or_b32 s25, s25, s27
	s_branch .LBB4_113
.LBB4_118:                              ;   in Loop: Header=BB4_85 Depth=2
	s_or_b32 exec_lo, exec_lo, s21
	s_and_saveexec_b32 s21, s22
	s_delay_alu instid0(SALU_CYCLE_1)
	s_xor_b32 s21, exec_lo, s21
	s_cbranch_execz .LBB4_120
; %bb.119:                              ;   in Loop: Header=BB4_85 Depth=2
	ds_store_b32 v0, v135
	s_cbranch_execnz .LBB4_325
.LBB4_120:                              ;   in Loop: Header=BB4_85 Depth=2
	s_or_b32 exec_lo, exec_lo, s20
	;;#ASMSTART
	s_wakeup
	;;#ASMEND
.LBB4_121:                              ;   in Loop: Header=BB4_85 Depth=2
	s_or_b32 exec_lo, exec_lo, s19
.LBB4_122:                              ;   in Loop: Header=BB4_85 Depth=2
	s_and_not1_saveexec_b32 s10, s10
	s_cbranch_execz .LBB4_124
; %bb.123:                              ;   in Loop: Header=BB4_85 Depth=2
	s_waitcnt vmcnt(0) lgkmcnt(0)
	s_waitcnt_vscnt null, 0x0
	buffer_gl1_inv
	buffer_gl0_inv
	s_barrier
.LBB4_124:                              ;   in Loop: Header=BB4_85 Depth=2
	s_or_b32 exec_lo, exec_lo, s10
.LBB4_125:                              ;   in Loop: Header=BB4_85 Depth=2
	s_delay_alu instid0(SALU_CYCLE_1)
	s_or_b32 exec_lo, exec_lo, s9
	v_mov_b32_e32 v98, v4
	s_and_saveexec_b32 s19, s8
	s_cbranch_execz .LBB4_151
; %bb.126:                              ;   in Loop: Header=BB4_85 Depth=2
	s_waitcnt vmcnt(0) lgkmcnt(0)
	v_ashrrev_i32_e32 v21, 31, v20
	v_mul_lo_u32 v54, v7, v20
	v_mad_u64_u32 v[18:19], null, v6, v20, 0
	v_and_b32_e32 v20, 7, v32
	s_delay_alu instid0(VALU_DEP_4)
	v_mul_lo_u32 v21, v6, v21
	v_and_b32_e32 v98, 7, v102
	v_mov_b32_e32 v114, v102
	v_mov_b32_e32 v164, v145
	v_mul_lo_u32 v20, v20, s13
	s_mov_b32 s20, 0
	v_mul_lo_u32 v98, v98, s13
	v_add3_u32 v19, v19, v21, v54
	v_add_nc_u32_e32 v54, 1, v32
	s_delay_alu instid0(VALU_DEP_4) | instskip(NEXT) | instid1(VALU_DEP_3)
	v_ashrrev_i32_e32 v21, 31, v20
	v_lshlrev_b64 v[18:19], 1, v[18:19]
	v_ashrrev_i32_e32 v99, 31, v98
	s_delay_alu instid0(VALU_DEP_3) | instskip(NEXT) | instid1(VALU_DEP_2)
	v_lshlrev_b64 v[20:21], 4, v[20:21]
	v_lshlrev_b64 v[98:99], 4, v[98:99]
	s_delay_alu instid0(VALU_DEP_4) | instskip(SKIP_1) | instid1(VALU_DEP_4)
	v_add_co_u32 v112, vcc_lo, v147, v18
	v_add_co_ci_u32_e32 v113, vcc_lo, v148, v19, vcc_lo
	v_add_co_u32 v150, vcc_lo, v28, v20
	v_add_co_ci_u32_e32 v151, vcc_lo, v29, v21, vcc_lo
	;; [unrolled: 2-line block ×4, first 2 shown]
	v_mov_b32_e32 v98, v4
	s_branch .LBB4_130
.LBB4_127:                              ;   in Loop: Header=BB4_130 Depth=3
	s_or_b32 exec_lo, exec_lo, s9
.LBB4_128:                              ;   in Loop: Header=BB4_130 Depth=3
	s_delay_alu instid0(SALU_CYCLE_1)
	s_or_b32 exec_lo, exec_lo, s10
.LBB4_129:                              ;   in Loop: Header=BB4_130 Depth=3
	s_delay_alu instid0(SALU_CYCLE_1)
	s_or_b32 exec_lo, exec_lo, s21
	v_lshlrev_b32_e32 v19, 3, v112
	v_lshrrev_b32_e32 v117, 16, v20
	v_add_co_u32 v112, vcc_lo, v112, v84
	v_sub_nc_u32_e32 v164, v164, v70
	s_waitcnt vmcnt(0) lgkmcnt(0)
	v_alignbit_b32 v21, v167, v165, v19
	v_alignbit_b32 v116, v166, v167, v19
	v_add_co_ci_u32_e32 v113, vcc_lo, v113, v85, vcc_lo
	v_or3_b32 v19, 0, 0, v163
	s_delay_alu instid0(VALU_DEP_4) | instskip(NEXT) | instid1(VALU_DEP_4)
	v_lshrrev_b32_e32 v166, 16, v21
	v_lshrrev_b32_e32 v165, 16, v116
	v_mul_f16_e32 v20, v116, v20
	v_mul_f16_e32 v18, v21, v18
	v_add_co_u32 v114, vcc_lo, v160, v114
	s_delay_alu instid0(VALU_DEP_4)
	v_mul_f16_e64 v21, v165, v117
	v_mul_f16_e64 v99, v166, v99
	v_and_b32_e32 v20, 0xffff, v20
	v_and_b32_e32 v18, 0xffff, v18
	v_add_co_ci_u32_e32 v115, vcc_lo, v161, v115, vcc_lo
	v_lshlrev_b32_e32 v21, 16, v21
	v_lshlrev_b32_e32 v99, 16, v99
	v_cmp_gt_i32_e32 vcc_lo, 1, v164
	v_add_nc_u32_e32 v98, v98, v1
	s_delay_alu instid0(VALU_DEP_4)
	v_or3_b32 v20, v21, v20, v162
	v_mov_b32_e32 v21, v19
	v_or3_b32 v18, v99, v18, v162
	s_or_b32 s20, vcc_lo, s20
	global_store_b128 v[114:115], v[18:21], off
	s_and_not1_b32 exec_lo, exec_lo, s20
	s_cbranch_execz .LBB4_150
.LBB4_130:                              ;   Parent Loop BB4_32 Depth=1
                                        ;     Parent Loop BB4_85 Depth=2
                                        ; =>    This Loop Header: Depth=3
                                        ;         Child Loop BB4_138 Depth 4
	v_dual_mov_b32 v19, v113 :: v_dual_and_b32 v18, -4, v112
	v_min_u32_e32 v20, 4, v164
	v_dual_mov_b32 v166, 0 :: v_dual_and_b32 v21, 3, v112
	v_mov_b32_e32 v167, 0
	flat_load_b32 v165, v[18:19] glc
	v_lshlrev_b32_e32 v20, 1, v20
	s_delay_alu instid0(VALU_DEP_1) | instskip(NEXT) | instid1(VALU_DEP_1)
	v_add_co_u32 v20, s9, v21, v20
	v_add_co_ci_u32_e64 v21, null, 0, 0, s9
	s_mov_b32 s9, exec_lo
	s_delay_alu instid0(VALU_DEP_1)
	v_cmpx_lt_u64_e32 4, v[20:21]
	s_cbranch_execz .LBB4_132
; %bb.131:                              ;   in Loop: Header=BB4_130 Depth=3
	flat_load_b32 v167, v[18:19] offset:4 glc
.LBB4_132:                              ;   in Loop: Header=BB4_130 Depth=3
	s_or_b32 exec_lo, exec_lo, s9
	s_delay_alu instid0(SALU_CYCLE_1)
	s_mov_b32 s9, exec_lo
	v_cmpx_lt_u64_e32 8, v[20:21]
	s_cbranch_execz .LBB4_134
; %bb.133:                              ;   in Loop: Header=BB4_130 Depth=3
	flat_load_b32 v166, v[18:19] offset:8 glc
.LBB4_134:                              ;   in Loop: Header=BB4_130 Depth=3
	s_or_b32 exec_lo, exec_lo, s9
	v_ashrrev_i32_e32 v99, 31, v98
	s_delay_alu instid0(VALU_DEP_1) | instskip(NEXT) | instid1(VALU_DEP_1)
	v_lshlrev_b64 v[114:115], 4, v[98:99]
	v_add_co_u32 v116, vcc_lo, v150, v114
	s_delay_alu instid0(VALU_DEP_2)
	v_add_co_ci_u32_e32 v117, vcc_lo, v151, v115, vcc_lo
	;;#ASMSTART
	global_load_b128 v[18:21], v[116:117], off glc slc dlc
s_waitcnt vmcnt(0)

	;;#ASMEND
	v_cmp_eq_u32_e32 vcc_lo, 0, v144
	v_lshrrev_b32_e32 v99, 16, v18
	s_and_saveexec_b32 s21, vcc_lo
	s_cbranch_execz .LBB4_129
; %bb.135:                              ;   in Loop: Header=BB4_130 Depth=3
	v_cmp_ne_u32_e64 s9, v54, v19
	v_cmp_ne_u32_e64 s10, v54, v21
	v_mov_b32_e32 v144, 0
	s_delay_alu instid0(VALU_DEP_2) | instskip(NEXT) | instid1(SALU_CYCLE_1)
	s_or_b32 s9, s9, s10
	s_and_saveexec_b32 s10, s9
	s_cbranch_execz .LBB4_128
; %bb.136:                              ;   in Loop: Header=BB4_130 Depth=3
	v_cndmask_b32_e64 v99, 0, 1, vcc_lo
	s_mov_b32 s22, 0
                                        ; implicit-def: $sgpr23
                                        ; implicit-def: $sgpr24
	s_branch .LBB4_138
.LBB4_137:                              ;   in Loop: Header=BB4_138 Depth=4
	s_or_b32 exec_lo, exec_lo, s25
	s_delay_alu instid0(SALU_CYCLE_1) | instskip(NEXT) | instid1(SALU_CYCLE_1)
	s_and_b32 s9, exec_lo, s9
	s_or_b32 s22, s9, s22
	s_and_not1_b32 s9, s23, exec_lo
	s_and_b32 s23, s24, exec_lo
	s_delay_alu instid0(SALU_CYCLE_1)
	s_or_b32 s23, s9, s23
	s_and_not1_b32 exec_lo, exec_lo, s22
	s_cbranch_execz .LBB4_146
.LBB4_138:                              ;   Parent Loop BB4_32 Depth=1
                                        ;     Parent Loop BB4_85 Depth=2
                                        ;       Parent Loop BB4_130 Depth=3
                                        ; =>      This Inner Loop Header: Depth=4
	s_delay_alu instid0(VALU_DEP_1)
	v_dual_mov_b32 v144, 0 :: v_dual_add_nc_u32 v99, 1, v99
	s_mov_b32 s9, -1
	s_mov_b32 s26, -1
	s_mov_b32 s25, exec_lo
	;;#ASMSTART
	global_load_b128 v[18:21], v[116:117], off glc slc dlc
s_waitcnt vmcnt(0)

	;;#ASMEND
	v_cmpx_eq_u32_e32 0x2710, v99
	s_cbranch_execz .LBB4_144
; %bb.139:                              ;   in Loop: Header=BB4_138 Depth=4
	s_cbranch_execnz .LBB4_251
; %bb.140:                              ;   in Loop: Header=BB4_138 Depth=4
	ds_load_b64 v[176:177], v0
	v_dual_mov_b32 v99, 0 :: v_dual_mov_b32 v144, 0
	s_mov_b32 s27, -1
	s_mov_b32 s26, exec_lo
	s_waitcnt vmcnt(0) lgkmcnt(0)
	s_waitcnt_vscnt null, 0x0
	flat_load_b32 v176, v[176:177] glc
	s_waitcnt vmcnt(0) lgkmcnt(0)
	buffer_gl1_inv
	buffer_gl0_inv
	v_cmpx_ne_u32_e32 0, v176
	s_cbranch_execz .LBB4_143
; %bb.141:                              ;   in Loop: Header=BB4_138 Depth=4
	ds_store_b32 v0, v176
	s_cbranch_execnz .LBB4_259
; %bb.142:                              ;   in Loop: Header=BB4_138 Depth=4
	v_mov_b32_e32 v144, 1
	s_xor_b32 s27, exec_lo, -1
.LBB4_143:                              ;   in Loop: Header=BB4_138 Depth=4
	s_or_b32 exec_lo, exec_lo, s26
	s_delay_alu instid0(SALU_CYCLE_1)
	s_or_not1_b32 s26, s27, exec_lo
.LBB4_144:                              ;   in Loop: Header=BB4_138 Depth=4
	s_or_b32 exec_lo, exec_lo, s25
	s_delay_alu instid0(SALU_CYCLE_1)
	s_or_b32 s24, s24, exec_lo
	s_and_saveexec_b32 s25, s26
	s_cbranch_execz .LBB4_137
; %bb.145:                              ;   in Loop: Header=BB4_138 Depth=4
	v_cmp_eq_u32_e32 vcc_lo, v54, v19
	v_cmp_eq_u32_e64 s9, v54, v21
	s_and_not1_b32 s24, s24, exec_lo
	s_delay_alu instid0(VALU_DEP_1) | instskip(NEXT) | instid1(SALU_CYCLE_1)
	s_and_b32 s9, vcc_lo, s9
	s_or_not1_b32 s9, s9, exec_lo
	s_branch .LBB4_137
.LBB4_146:                              ;   in Loop: Header=BB4_130 Depth=3
	s_or_b32 exec_lo, exec_lo, s22
	s_xor_b32 s9, s23, -1
                                        ; implicit-def: $vgpr99
	s_delay_alu instid0(SALU_CYCLE_1) | instskip(NEXT) | instid1(SALU_CYCLE_1)
	s_and_saveexec_b32 s22, s9
	s_xor_b32 s9, exec_lo, s22
; %bb.147:                              ;   in Loop: Header=BB4_130 Depth=3
	v_lshrrev_b32_e32 v99, 16, v18
; %bb.148:                              ;   in Loop: Header=BB4_130 Depth=3
	s_and_not1_saveexec_b32 s9, s9
	s_cbranch_execz .LBB4_127
; %bb.149:                              ;   in Loop: Header=BB4_130 Depth=3
	v_lshrrev_b32_e32 v99, 16, v18
	s_branch .LBB4_127
.LBB4_150:                              ;   in Loop: Header=BB4_85 Depth=2
	s_or_b32 exec_lo, exec_lo, s20
.LBB4_151:                              ;   in Loop: Header=BB4_85 Depth=2
	s_delay_alu instid0(SALU_CYCLE_1)
	s_or_b32 exec_lo, exec_lo, s19
	s_and_saveexec_b32 s9, s3
	s_cbranch_execz .LBB4_173
; %bb.152:                              ;   in Loop: Header=BB4_85 Depth=2
	s_and_saveexec_b32 s10, s4
	s_delay_alu instid0(SALU_CYCLE_1)
	s_xor_b32 s10, exec_lo, s10
	s_cbranch_execz .LBB4_170
; %bb.153:                              ;   in Loop: Header=BB4_85 Depth=2
	s_and_saveexec_b32 s19, s5
	s_cbranch_execz .LBB4_169
; %bb.154:                              ;   in Loop: Header=BB4_85 Depth=2
	s_mov_b32 s21, exec_lo
	s_mov_b32 s20, exec_lo
	v_mbcnt_lo_u32_b32 v18, s21, 0
	s_waitcnt vmcnt(0) lgkmcnt(0)
	s_waitcnt_vscnt null, 0x0
	buffer_gl1_inv
	buffer_gl0_inv
	v_cmpx_eq_u32_e32 0, v18
	s_cbranch_execz .LBB4_156
; %bb.155:                              ;   in Loop: Header=BB4_85 Depth=2
	s_bcnt1_i32_b32 s21, s21
	s_delay_alu instid0(SALU_CYCLE_1)
	v_mov_b32_e32 v54, s21
	ds_add_u64 v0, v[54:55]
	s_cbranch_execnz .LBB4_294
.LBB4_156:                              ;   in Loop: Header=BB4_85 Depth=2
	s_or_b32 exec_lo, exec_lo, s20
	s_cbranch_execnz .LBB4_286
; %bb.157:                              ;   in Loop: Header=BB4_85 Depth=2
	ds_load_b64 v[18:19], v0
	v_add_co_u32 v2, vcc_lo, v2, v118
	v_add_co_ci_u32_e32 v3, vcc_lo, v3, v69, vcc_lo
	s_mov_b32 s20, exec_lo
	s_waitcnt lgkmcnt(0)
	s_delay_alu instid0(VALU_DEP_1)
	v_cmpx_lt_u64_e64 v[18:19], v[2:3]
	s_cbranch_execz .LBB4_168
; %bb.158:                              ;   in Loop: Header=BB4_85 Depth=2
	s_mov_b32 s21, 0
	s_mov_b32 s24, 0
                                        ; implicit-def: $sgpr22
                                        ; implicit-def: $sgpr23
	s_branch .LBB4_160
.LBB4_159:                              ;   in Loop: Header=BB4_160 Depth=3
	s_or_b32 exec_lo, exec_lo, s27
	s_delay_alu instid0(SALU_CYCLE_1) | instskip(NEXT) | instid1(SALU_CYCLE_1)
	s_and_b32 s25, exec_lo, s26
	s_or_b32 s21, s25, s21
	s_and_not1_b32 s22, s22, exec_lo
	s_and_b32 s25, s23, exec_lo
	s_delay_alu instid0(SALU_CYCLE_1)
	s_or_b32 s22, s22, s25
	s_and_not1_b32 exec_lo, exec_lo, s21
	s_cbranch_execz .LBB4_166
.LBB4_160:                              ;   Parent Loop BB4_32 Depth=1
                                        ;     Parent Loop BB4_85 Depth=2
                                        ; =>    This Inner Loop Header: Depth=3
	s_add_i32 s24, s24, 1
                                        ; implicit-def: $sgpr26
	s_delay_alu instid0(SALU_CYCLE_1) | instskip(SKIP_1) | instid1(SALU_CYCLE_1)
	s_cmpk_lg_i32 s24, 0x2710
	s_cselect_b32 s25, -1, 0
	s_and_b32 vcc_lo, exec_lo, s25
	s_cbranch_vccz .LBB4_164
.LBB4_161:                              ;   in Loop: Header=BB4_160 Depth=3
	s_and_not1_b32 s23, s23, exec_lo
	s_and_b32 s27, s26, exec_lo
	s_mov_b32 s26, -1
	s_or_b32 s23, s23, s27
	s_and_saveexec_b32 s27, s25
	s_cbranch_execz .LBB4_159
; %bb.162:                              ;   in Loop: Header=BB4_160 Depth=3
	s_sleep 1
	s_cbranch_execnz .LBB4_306
; %bb.163:                              ;   in Loop: Header=BB4_160 Depth=3
	ds_load_b64 v[18:19], v0
	s_and_not1_b32 s23, s23, exec_lo
	s_waitcnt lgkmcnt(0)
	v_cmp_ge_u64_e32 vcc_lo, v[18:19], v[2:3]
	s_or_not1_b32 s26, vcc_lo, exec_lo
	s_branch .LBB4_159
.LBB4_164:                              ;   in Loop: Header=BB4_160 Depth=3
	s_cbranch_execnz .LBB4_308
; %bb.165:                              ;   in Loop: Header=BB4_160 Depth=3
	ds_load_b64 v[18:19], v0
	s_and_not1_b32 s25, s25, exec_lo
	s_mov_b32 s24, 0
	s_mov_b32 s26, -1
	s_waitcnt lgkmcnt(0)
	flat_load_b32 v18, v[18:19] glc
	s_waitcnt vmcnt(0) lgkmcnt(0)
	buffer_gl1_inv
	buffer_gl0_inv
	v_cmp_eq_u32_e32 vcc_lo, 0, v18
	s_and_b32 s27, vcc_lo, exec_lo
	s_delay_alu instid0(SALU_CYCLE_1)
	s_or_b32 s25, s25, s27
	s_branch .LBB4_161
.LBB4_166:                              ;   in Loop: Header=BB4_85 Depth=2
	s_or_b32 exec_lo, exec_lo, s21
	s_and_saveexec_b32 s21, s22
	s_delay_alu instid0(SALU_CYCLE_1)
	s_xor_b32 s21, exec_lo, s21
	s_cbranch_execz .LBB4_168
; %bb.167:                              ;   in Loop: Header=BB4_85 Depth=2
	ds_store_b32 v0, v135
	s_cbranch_execnz .LBB4_327
.LBB4_168:                              ;   in Loop: Header=BB4_85 Depth=2
	s_or_b32 exec_lo, exec_lo, s20
	;;#ASMSTART
	s_wakeup
	;;#ASMEND
.LBB4_169:                              ;   in Loop: Header=BB4_85 Depth=2
	s_or_b32 exec_lo, exec_lo, s19
.LBB4_170:                              ;   in Loop: Header=BB4_85 Depth=2
	s_and_not1_saveexec_b32 s10, s10
	s_cbranch_execz .LBB4_172
; %bb.171:                              ;   in Loop: Header=BB4_85 Depth=2
	s_waitcnt vmcnt(0) lgkmcnt(0)
	s_waitcnt_vscnt null, 0x0
	buffer_gl1_inv
	buffer_gl0_inv
	s_barrier
.LBB4_172:                              ;   in Loop: Header=BB4_85 Depth=2
	s_or_b32 exec_lo, exec_lo, s10
.LBB4_173:                              ;   in Loop: Header=BB4_85 Depth=2
	s_delay_alu instid0(SALU_CYCLE_1)
	s_or_b32 exec_lo, exec_lo, s9
	s_and_saveexec_b32 s9, s6
	s_cbranch_execz .LBB4_175
; %bb.174:                              ;   in Loop: Header=BB4_85 Depth=2
	v_add_co_u32 v48, vcc_lo, v48, 1
	v_add_co_ci_u32_e32 v49, vcc_lo, 0, v49, vcc_lo
	s_waitcnt vmcnt(0) lgkmcnt(0)
	s_waitcnt_vscnt null, 0x0
	flat_store_b64 v[36:37], v[48:49]
.LBB4_175:                              ;   in Loop: Header=BB4_85 Depth=2
	s_or_b32 exec_lo, exec_lo, s9
	v_and_b32_e32 v54, 0x7ffffff8, v102
	v_cmp_gt_i32_e64 s9, s13, v98
	s_delay_alu instid0(VALU_DEP_2) | instskip(NEXT) | instid1(VALU_DEP_2)
	v_cmp_eq_u64_e32 vcc_lo, 0x7ffffff8, v[54:55]
	s_and_b32 s9, vcc_lo, s9
	s_delay_alu instid0(SALU_CYCLE_1)
	s_and_saveexec_b32 s10, s9
	s_cbranch_execz .LBB4_178
; %bb.176:                              ;   in Loop: Header=BB4_85 Depth=2
	v_and_b32_e32 v18, 7, v149
	v_ashrrev_i32_e32 v99, 31, v98
	v_mov_b32_e32 v54, v102
	s_mov_b32 s19, 0
	s_delay_alu instid0(VALU_DEP_3) | instskip(SKIP_2) | instid1(VALU_DEP_2)
	v_mul_lo_u32 v18, s13, v18
	s_waitcnt vmcnt(0) lgkmcnt(0)
	v_lshlrev_b64 v[20:21], 4, v[98:99]
	v_ashrrev_i32_e32 v19, 31, v18
	s_delay_alu instid0(VALU_DEP_1) | instskip(NEXT) | instid1(VALU_DEP_1)
	v_lshlrev_b64 v[18:19], 4, v[18:19]
	v_add_co_u32 v20, vcc_lo, v20, v18
	s_delay_alu instid0(VALU_DEP_2) | instskip(SKIP_2) | instid1(VALU_DEP_4)
	v_add_co_ci_u32_e32 v21, vcc_lo, v21, v19, vcc_lo
	v_add_co_u32 v18, vcc_lo, 0, 0
	v_add_co_ci_u32_e32 v19, vcc_lo, 1, v54, vcc_lo
	v_add_co_u32 v112, vcc_lo, v38, v20
	s_delay_alu instid0(VALU_DEP_4)
	v_add_co_ci_u32_e32 v113, vcc_lo, v39, v21, vcc_lo
.LBB4_177:                              ;   Parent Loop BB4_32 Depth=1
                                        ;     Parent Loop BB4_85 Depth=2
                                        ; =>    This Inner Loop Header: Depth=3
	s_delay_alu instid0(VALU_DEP_3) | instskip(SKIP_4) | instid1(VALU_DEP_1)
	v_dual_mov_b32 v20, v18 :: v_dual_mov_b32 v21, v19
	v_add_nc_u32_e32 v98, v98, v1
	global_store_b128 v[112:113], v[18:21], off
	v_cmp_le_i32_e32 vcc_lo, s13, v98
	v_add_co_u32 v112, s9, v112, v96
	v_add_co_ci_u32_e64 v113, s9, v113, v97, s9
	s_or_b32 s19, vcc_lo, s19
	s_delay_alu instid0(SALU_CYCLE_1)
	s_and_not1_b32 exec_lo, exec_lo, s19
	s_cbranch_execnz .LBB4_177
.LBB4_178:                              ;   in Loop: Header=BB4_85 Depth=2
	s_or_b32 exec_lo, exec_lo, s10
	v_add_co_u32 v32, vcc_lo, v32, 1
	v_add_co_ci_u32_e32 v33, vcc_lo, 0, v33, vcc_lo
	v_add_co_u32 v102, vcc_lo, v102, 1
	v_add_co_ci_u32_e32 v103, vcc_lo, 0, v103, vcc_lo
	v_add_nc_u16 v149, v149, 1
	s_add_i32 s18, s18, 1
	s_delay_alu instid0(SALU_CYCLE_1)
	s_cmp_eq_u32 s18, s14
	s_cbranch_scc0 .LBB4_85
.LBB4_179:                              ;   in Loop: Header=BB4_32 Depth=1
	s_delay_alu instid0(VALU_DEP_1)
	v_dual_mov_b32 v98, v102 :: v_dual_mov_b32 v99, v103
	s_and_saveexec_b32 s10, s8
	s_cbranch_execz .LBB4_211
; %bb.180:                              ;   in Loop: Header=BB4_32 Depth=1
	s_waitcnt vmcnt(0) lgkmcnt(0)
	flat_load_b32 v20, v[22:23]
	v_and_b32_e32 v54, 7, v32
	s_mov_b32 s18, 0
	s_delay_alu instid0(VALU_DEP_1)
	v_mul_lo_u32 v102, v54, s13
	v_add_nc_u32_e32 v54, 1, v32
	s_waitcnt vmcnt(0) lgkmcnt(0)
	v_ashrrev_i32_e32 v21, 31, v20
	v_mul_lo_u32 v103, v7, v20
	v_mad_u64_u32 v[18:19], null, v6, v20, 0
	s_delay_alu instid0(VALU_DEP_3) | instskip(SKIP_1) | instid1(VALU_DEP_2)
	v_mul_lo_u32 v112, v6, v21
	v_lshlrev_b64 v[20:21], 1, v[100:101]
	v_add3_u32 v19, v19, v112, v103
	s_delay_alu instid0(VALU_DEP_2) | instskip(SKIP_1) | instid1(VALU_DEP_4)
	v_add_co_u32 v112, vcc_lo, v12, v20
	v_ashrrev_i32_e32 v103, 31, v102
	v_add_co_ci_u32_e32 v113, vcc_lo, v13, v21, vcc_lo
	s_delay_alu instid0(VALU_DEP_4) | instskip(SKIP_3) | instid1(VALU_DEP_4)
	v_lshlrev_b64 v[18:19], 1, v[18:19]
	v_add_co_u32 v100, vcc_lo, v129, v20
	v_add_co_ci_u32_e32 v101, vcc_lo, v130, v21, vcc_lo
	v_lshlrev_b64 v[20:21], 4, v[102:103]
	v_add_co_u32 v18, vcc_lo, v112, v18
	v_add_co_ci_u32_e32 v19, vcc_lo, v113, v19, vcc_lo
	v_mov_b32_e32 v102, v4
	s_delay_alu instid0(VALU_DEP_4)
	v_add_co_u32 v114, vcc_lo, v28, v20
	v_add_co_ci_u32_e32 v115, vcc_lo, v29, v21, vcc_lo
	v_add_co_u32 v116, vcc_lo, v18, v80
	v_add_co_ci_u32_e32 v117, vcc_lo, v19, v81, vcc_lo
	s_branch .LBB4_182
.LBB4_181:                              ;   in Loop: Header=BB4_182 Depth=2
	v_sub_nc_u32_e32 v145, v145, v70
	v_add_co_u32 v116, vcc_lo, v116, v84
	v_add_co_ci_u32_e32 v117, vcc_lo, v117, v85, vcc_lo
	s_delay_alu instid0(VALU_DEP_3) | instskip(SKIP_1) | instid1(VALU_DEP_1)
	v_cmp_gt_i32_e32 vcc_lo, 1, v145
	v_add_co_u32 v100, s8, v100, v84
	v_add_co_ci_u32_e64 v101, s8, v101, v85, s8
	v_add_nc_u32_e32 v102, v102, v1
	s_or_b32 s18, vcc_lo, s18
	s_delay_alu instid0(SALU_CYCLE_1)
	s_and_not1_b32 exec_lo, exec_lo, s18
	s_cbranch_execz .LBB4_210
.LBB4_182:                              ;   Parent Loop BB4_32 Depth=1
                                        ; =>  This Loop Header: Depth=2
                                        ;       Child Loop BB4_190 Depth 3
	s_delay_alu instid0(VALU_DEP_1)
	v_dual_mov_b32 v19, v117 :: v_dual_and_b32 v18, -4, v116
	v_min_u32_e32 v20, 4, v145
	v_dual_mov_b32 v148, 0 :: v_dual_and_b32 v21, 3, v116
	v_mov_b32_e32 v147, 0
	flat_load_b32 v146, v[18:19] glc
	v_lshlrev_b32_e32 v20, 1, v20
	s_delay_alu instid0(VALU_DEP_1) | instskip(NEXT) | instid1(VALU_DEP_1)
	v_add_co_u32 v20, s8, v21, v20
	v_add_co_ci_u32_e64 v21, null, 0, 0, s8
	s_mov_b32 s8, exec_lo
	s_delay_alu instid0(VALU_DEP_1)
	v_cmpx_lt_u64_e32 4, v[20:21]
	s_cbranch_execz .LBB4_184
; %bb.183:                              ;   in Loop: Header=BB4_182 Depth=2
	flat_load_b32 v148, v[18:19] offset:4 glc
.LBB4_184:                              ;   in Loop: Header=BB4_182 Depth=2
	s_or_b32 exec_lo, exec_lo, s8
	s_delay_alu instid0(SALU_CYCLE_1)
	s_mov_b32 s8, exec_lo
	v_cmpx_lt_u64_e32 8, v[20:21]
	s_cbranch_execz .LBB4_186
; %bb.185:                              ;   in Loop: Header=BB4_182 Depth=2
	flat_load_b32 v147, v[18:19] offset:8 glc
.LBB4_186:                              ;   in Loop: Header=BB4_182 Depth=2
	s_or_b32 exec_lo, exec_lo, s8
	v_ashrrev_i32_e32 v103, 31, v102
	s_delay_alu instid0(VALU_DEP_1) | instskip(NEXT) | instid1(VALU_DEP_1)
	v_lshlrev_b64 v[18:19], 4, v[102:103]
	v_add_co_u32 v112, vcc_lo, v114, v18
	s_delay_alu instid0(VALU_DEP_2)
	v_add_co_ci_u32_e32 v113, vcc_lo, v115, v19, vcc_lo
	;;#ASMSTART
	global_load_b128 v[18:21], v[112:113], off glc slc dlc
s_waitcnt vmcnt(0)

	;;#ASMEND
	v_cmp_eq_u32_e32 vcc_lo, 0, v144
	v_lshrrev_b32_e32 v103, 16, v18
	s_and_saveexec_b32 s19, vcc_lo
	s_cbranch_execz .LBB4_200
; %bb.187:                              ;   in Loop: Header=BB4_182 Depth=2
	v_cmp_ne_u32_e64 s8, v54, v19
	v_cmp_ne_u32_e64 s9, v54, v21
	v_mov_b32_e32 v144, 0
	s_delay_alu instid0(VALU_DEP_2) | instskip(NEXT) | instid1(SALU_CYCLE_1)
	s_or_b32 s8, s8, s9
	s_and_saveexec_b32 s9, s8
	s_cbranch_execz .LBB4_199
; %bb.188:                              ;   in Loop: Header=BB4_182 Depth=2
	v_cndmask_b32_e64 v103, 0, 1, vcc_lo
	s_mov_b32 s20, 0
                                        ; implicit-def: $sgpr21
                                        ; implicit-def: $sgpr22
	s_branch .LBB4_190
.LBB4_189:                              ;   in Loop: Header=BB4_190 Depth=3
	s_or_b32 exec_lo, exec_lo, s23
	s_delay_alu instid0(SALU_CYCLE_1) | instskip(NEXT) | instid1(SALU_CYCLE_1)
	s_and_b32 s8, exec_lo, s8
	s_or_b32 s20, s8, s20
	s_and_not1_b32 s8, s21, exec_lo
	s_and_b32 s21, s22, exec_lo
	s_delay_alu instid0(SALU_CYCLE_1)
	s_or_b32 s21, s8, s21
	s_and_not1_b32 exec_lo, exec_lo, s20
	s_cbranch_execz .LBB4_198
.LBB4_190:                              ;   Parent Loop BB4_32 Depth=1
                                        ;     Parent Loop BB4_182 Depth=2
                                        ; =>    This Inner Loop Header: Depth=3
	s_delay_alu instid0(VALU_DEP_1)
	v_dual_mov_b32 v144, 0 :: v_dual_add_nc_u32 v103, 1, v103
	s_mov_b32 s8, -1
	s_mov_b32 s24, -1
	s_mov_b32 s23, exec_lo
	;;#ASMSTART
	global_load_b128 v[18:21], v[112:113], off glc slc dlc
s_waitcnt vmcnt(0)

	;;#ASMEND
	v_cmpx_eq_u32_e32 0x2710, v103
	s_cbranch_execz .LBB4_196
; %bb.191:                              ;   in Loop: Header=BB4_190 Depth=3
	s_cbranch_execnz .LBB4_253
; %bb.192:                              ;   in Loop: Header=BB4_190 Depth=3
	ds_load_b64 v[149:150], v0
	v_dual_mov_b32 v103, 0 :: v_dual_mov_b32 v144, 0
	s_mov_b32 s25, -1
	s_mov_b32 s24, exec_lo
	s_waitcnt vmcnt(0) lgkmcnt(0)
	s_waitcnt_vscnt null, 0x0
	flat_load_b32 v149, v[149:150] glc
	s_waitcnt vmcnt(0) lgkmcnt(0)
	buffer_gl1_inv
	buffer_gl0_inv
	v_cmpx_ne_u32_e32 0, v149
	s_cbranch_execz .LBB4_195
; %bb.193:                              ;   in Loop: Header=BB4_190 Depth=3
	ds_store_b32 v0, v149
	s_cbranch_execnz .LBB4_265
; %bb.194:                              ;   in Loop: Header=BB4_190 Depth=3
	v_mov_b32_e32 v144, 1
	s_xor_b32 s25, exec_lo, -1
.LBB4_195:                              ;   in Loop: Header=BB4_190 Depth=3
	s_or_b32 exec_lo, exec_lo, s24
	s_delay_alu instid0(SALU_CYCLE_1)
	s_or_not1_b32 s24, s25, exec_lo
.LBB4_196:                              ;   in Loop: Header=BB4_190 Depth=3
	s_or_b32 exec_lo, exec_lo, s23
	s_delay_alu instid0(SALU_CYCLE_1)
	s_or_b32 s22, s22, exec_lo
	s_and_saveexec_b32 s23, s24
	s_cbranch_execz .LBB4_189
; %bb.197:                              ;   in Loop: Header=BB4_190 Depth=3
	v_cmp_eq_u32_e32 vcc_lo, v54, v19
	v_cmp_eq_u32_e64 s8, v54, v21
	s_and_not1_b32 s22, s22, exec_lo
	s_delay_alu instid0(VALU_DEP_1) | instskip(NEXT) | instid1(SALU_CYCLE_1)
	s_and_b32 s8, vcc_lo, s8
	s_or_not1_b32 s8, s8, exec_lo
	s_branch .LBB4_189
.LBB4_198:                              ;   in Loop: Header=BB4_182 Depth=2
	s_or_b32 exec_lo, exec_lo, s20
	v_lshrrev_b32_e32 v103, 16, v18
	s_xor_b32 s8, s21, -1
	s_delay_alu instid0(SALU_CYCLE_1) | instskip(NEXT) | instid1(SALU_CYCLE_1)
	s_and_saveexec_b32 s20, s8
	s_xor_b32 s8, exec_lo, s20
	s_delay_alu instid0(SALU_CYCLE_1) | instskip(NEXT) | instid1(SALU_CYCLE_1)
	s_and_not1_saveexec_b32 s8, s8
	s_or_b32 exec_lo, exec_lo, s8
.LBB4_199:                              ;   in Loop: Header=BB4_182 Depth=2
	s_delay_alu instid0(SALU_CYCLE_1)
	s_or_b32 exec_lo, exec_lo, s9
.LBB4_200:                              ;   in Loop: Header=BB4_182 Depth=2
	s_delay_alu instid0(SALU_CYCLE_1) | instskip(SKIP_4) | instid1(VALU_DEP_3)
	s_or_b32 exec_lo, exec_lo, s19
	v_lshlrev_b32_e32 v19, 3, v116
	v_cmp_lt_u32_e32 vcc_lo, 3, v145
	v_lshrrev_b32_e32 v113, 16, v20
	s_waitcnt vmcnt(0) lgkmcnt(0)
	v_alignbit_b32 v21, v148, v146, v19
	v_alignbit_b32 v19, v147, v148, v19
	s_and_b32 s8, s7, vcc_lo
	s_delay_alu instid0(SALU_CYCLE_1) | instskip(NEXT) | instid1(VALU_DEP_3)
	v_cndmask_b32_e64 v112, 0, 1, s8
	v_lshrrev_b32_e32 v146, 16, v21
	s_delay_alu instid0(VALU_DEP_3) | instskip(SKIP_1) | instid1(VALU_DEP_3)
	v_lshrrev_b32_e32 v147, 16, v19
	;;#ASMSTART
	;;#ASMEND
	v_cmp_ne_u32_e64 s8, 0, v112
	v_mul_f16_e32 v18, v21, v18
	v_mul_f16_e32 v19, v19, v20
	v_mul_f16_e64 v20, v146, v103
	v_mul_f16_e64 v21, v147, v113
	s_cmp_lg_u32 s8, exec_lo
	s_mov_b32 s8, -1
	s_cbranch_scc0 .LBB4_208
; %bb.201:                              ;   in Loop: Header=BB4_182 Depth=2
	s_mov_b32 s9, exec_lo
	flat_store_b16 v[100:101], v18
	v_cmpx_ne_u32_e32 1, v145
	s_cbranch_execz .LBB4_203
; %bb.202:                              ;   in Loop: Header=BB4_182 Depth=2
	flat_store_b16 v[100:101], v20 offset:2
.LBB4_203:                              ;   in Loop: Header=BB4_182 Depth=2
	s_or_b32 exec_lo, exec_lo, s9
	s_delay_alu instid0(SALU_CYCLE_1)
	s_mov_b32 s9, exec_lo
	v_cmpx_lt_u32_e32 2, v145
	s_cbranch_execz .LBB4_205
; %bb.204:                              ;   in Loop: Header=BB4_182 Depth=2
	flat_store_b16 v[100:101], v19 offset:4
.LBB4_205:                              ;   in Loop: Header=BB4_182 Depth=2
	s_or_b32 exec_lo, exec_lo, s9
	s_and_saveexec_b32 s8, vcc_lo
	s_cbranch_execz .LBB4_207
; %bb.206:                              ;   in Loop: Header=BB4_182 Depth=2
	flat_store_b16 v[100:101], v21 offset:6
.LBB4_207:                              ;   in Loop: Header=BB4_182 Depth=2
	s_or_b32 exec_lo, exec_lo, s8
	s_mov_b32 s8, 0
.LBB4_208:                              ;   in Loop: Header=BB4_182 Depth=2
	s_delay_alu instid0(SALU_CYCLE_1)
	s_and_b32 vcc_lo, exec_lo, s8
	s_cbranch_vccz .LBB4_181
; %bb.209:                              ;   in Loop: Header=BB4_182 Depth=2
	v_lshlrev_b32_e32 v20, 16, v20
	v_lshlrev_b32_e32 v21, 16, v21
	v_and_b32_e32 v19, 0xffff, v19
	v_and_b32_e32 v18, 0xffff, v18
	s_delay_alu instid0(VALU_DEP_2) | instskip(NEXT) | instid1(VALU_DEP_2)
	v_or3_b32 v19, v21, v19, 0
	v_or_b32_e32 v18, v18, v20
	global_store_b64 v[100:101], v[18:19], off
	s_branch .LBB4_181
.LBB4_210:                              ;   in Loop: Header=BB4_32 Depth=1
	s_or_b32 exec_lo, exec_lo, s18
.LBB4_211:                              ;   in Loop: Header=BB4_32 Depth=1
	s_delay_alu instid0(SALU_CYCLE_1)
	s_or_b32 exec_lo, exec_lo, s10
	s_and_saveexec_b32 s8, s3
	s_cbranch_execz .LBB4_233
; %bb.212:                              ;   in Loop: Header=BB4_32 Depth=1
	s_and_saveexec_b32 s9, s4
	s_delay_alu instid0(SALU_CYCLE_1)
	s_xor_b32 s9, exec_lo, s9
	s_cbranch_execz .LBB4_230
; %bb.213:                              ;   in Loop: Header=BB4_32 Depth=1
	s_and_saveexec_b32 s10, s5
	s_cbranch_execz .LBB4_229
; %bb.214:                              ;   in Loop: Header=BB4_32 Depth=1
	s_mov_b32 s19, exec_lo
	s_mov_b32 s18, exec_lo
	v_mbcnt_lo_u32_b32 v18, s19, 0
	s_waitcnt vmcnt(0) lgkmcnt(0)
	s_waitcnt_vscnt null, 0x0
	buffer_gl1_inv
	buffer_gl0_inv
	v_cmpx_eq_u32_e32 0, v18
	s_cbranch_execz .LBB4_216
; %bb.215:                              ;   in Loop: Header=BB4_32 Depth=1
	s_bcnt1_i32_b32 s19, s19
	s_delay_alu instid0(SALU_CYCLE_1)
	v_mov_b32_e32 v54, s19
	ds_add_u64 v0, v[54:55]
	s_cbranch_execnz .LBB4_302
.LBB4_216:                              ;   in Loop: Header=BB4_32 Depth=1
	s_or_b32 exec_lo, exec_lo, s18
	s_cbranch_execnz .LBB4_290
; %bb.217:                              ;   in Loop: Header=BB4_32 Depth=1
	ds_load_b64 v[18:19], v0
	v_add_co_u32 v2, vcc_lo, v2, v118
	v_add_co_ci_u32_e32 v3, vcc_lo, v3, v69, vcc_lo
	s_mov_b32 s18, exec_lo
	s_waitcnt lgkmcnt(0)
	s_delay_alu instid0(VALU_DEP_1)
	v_cmpx_lt_u64_e64 v[18:19], v[2:3]
	s_cbranch_execz .LBB4_228
; %bb.218:                              ;   in Loop: Header=BB4_32 Depth=1
	s_mov_b32 s19, 0
	s_mov_b32 s22, 0
                                        ; implicit-def: $sgpr20
                                        ; implicit-def: $sgpr21
	s_branch .LBB4_220
.LBB4_219:                              ;   in Loop: Header=BB4_220 Depth=2
	s_or_b32 exec_lo, exec_lo, s25
	s_delay_alu instid0(SALU_CYCLE_1) | instskip(NEXT) | instid1(SALU_CYCLE_1)
	s_and_b32 s23, exec_lo, s24
	s_or_b32 s19, s23, s19
	s_and_not1_b32 s20, s20, exec_lo
	s_and_b32 s23, s21, exec_lo
	s_delay_alu instid0(SALU_CYCLE_1)
	s_or_b32 s20, s20, s23
	s_and_not1_b32 exec_lo, exec_lo, s19
	s_cbranch_execz .LBB4_226
.LBB4_220:                              ;   Parent Loop BB4_32 Depth=1
                                        ; =>  This Inner Loop Header: Depth=2
	s_add_i32 s22, s22, 1
                                        ; implicit-def: $sgpr24
	s_delay_alu instid0(SALU_CYCLE_1) | instskip(SKIP_1) | instid1(SALU_CYCLE_1)
	s_cmpk_lg_i32 s22, 0x2710
	s_cselect_b32 s23, -1, 0
	s_and_b32 vcc_lo, exec_lo, s23
	s_cbranch_vccz .LBB4_224
.LBB4_221:                              ;   in Loop: Header=BB4_220 Depth=2
	s_and_not1_b32 s21, s21, exec_lo
	s_and_b32 s25, s24, exec_lo
	s_mov_b32 s24, -1
	s_or_b32 s21, s21, s25
	s_and_saveexec_b32 s25, s23
	s_cbranch_execz .LBB4_219
; %bb.222:                              ;   in Loop: Header=BB4_220 Depth=2
	s_sleep 1
	s_cbranch_execnz .LBB4_310
; %bb.223:                              ;   in Loop: Header=BB4_220 Depth=2
	ds_load_b64 v[18:19], v0
	s_and_not1_b32 s21, s21, exec_lo
	s_waitcnt lgkmcnt(0)
	v_cmp_ge_u64_e32 vcc_lo, v[18:19], v[2:3]
	s_or_not1_b32 s24, vcc_lo, exec_lo
	s_branch .LBB4_219
.LBB4_224:                              ;   in Loop: Header=BB4_220 Depth=2
	s_cbranch_execnz .LBB4_312
; %bb.225:                              ;   in Loop: Header=BB4_220 Depth=2
	ds_load_b64 v[18:19], v0
	s_and_not1_b32 s23, s23, exec_lo
	s_mov_b32 s22, 0
	s_mov_b32 s24, -1
	s_waitcnt lgkmcnt(0)
	flat_load_b32 v18, v[18:19] glc
	s_waitcnt vmcnt(0) lgkmcnt(0)
	buffer_gl1_inv
	buffer_gl0_inv
	v_cmp_eq_u32_e32 vcc_lo, 0, v18
	s_and_b32 s25, vcc_lo, exec_lo
	s_delay_alu instid0(SALU_CYCLE_1)
	s_or_b32 s23, s23, s25
	s_branch .LBB4_221
.LBB4_226:                              ;   in Loop: Header=BB4_32 Depth=1
	s_or_b32 exec_lo, exec_lo, s19
	s_and_saveexec_b32 s19, s20
	s_delay_alu instid0(SALU_CYCLE_1)
	s_xor_b32 s19, exec_lo, s19
	s_cbranch_execz .LBB4_228
; %bb.227:                              ;   in Loop: Header=BB4_32 Depth=1
	ds_store_b32 v0, v135
	s_cbranch_execnz .LBB4_329
.LBB4_228:                              ;   in Loop: Header=BB4_32 Depth=1
	s_or_b32 exec_lo, exec_lo, s18
	;;#ASMSTART
	s_wakeup
	;;#ASMEND
.LBB4_229:                              ;   in Loop: Header=BB4_32 Depth=1
	s_or_b32 exec_lo, exec_lo, s10
.LBB4_230:                              ;   in Loop: Header=BB4_32 Depth=1
	s_and_not1_saveexec_b32 s9, s9
	s_cbranch_execz .LBB4_232
; %bb.231:                              ;   in Loop: Header=BB4_32 Depth=1
	s_waitcnt vmcnt(0) lgkmcnt(0)
	s_waitcnt_vscnt null, 0x0
	buffer_gl1_inv
	buffer_gl0_inv
	s_barrier
.LBB4_232:                              ;   in Loop: Header=BB4_32 Depth=1
	s_or_b32 exec_lo, exec_lo, s9
.LBB4_233:                              ;   in Loop: Header=BB4_32 Depth=1
	s_delay_alu instid0(SALU_CYCLE_1)
	s_or_b32 exec_lo, exec_lo, s8
	s_and_saveexec_b32 s8, s6
	s_cbranch_execz .LBB4_235
; %bb.234:                              ;   in Loop: Header=BB4_32 Depth=1
	v_add_co_u32 v48, vcc_lo, v48, 1
	v_add_co_ci_u32_e32 v49, vcc_lo, 0, v49, vcc_lo
	s_waitcnt vmcnt(0) lgkmcnt(0)
	s_waitcnt_vscnt null, 0x0
	flat_store_b64 v[36:37], v[48:49]
.LBB4_235:                              ;   in Loop: Header=BB4_32 Depth=1
	s_or_b32 exec_lo, exec_lo, s8
	v_add_co_u32 v86, vcc_lo, v86, v64
	v_add_co_ci_u32_e32 v87, vcc_lo, 0, v87, vcc_lo
	v_add_co_u32 v32, vcc_lo, v32, 1
	v_add_co_ci_u32_e32 v33, vcc_lo, 0, v33, vcc_lo
	s_delay_alu instid0(VALU_DEP_3) | instskip(SKIP_1) | instid1(VALU_DEP_1)
	v_cmp_ge_u64_e32 vcc_lo, v[86:87], v[8:9]
	v_add_co_u32 v10, s8, v10, v131
	v_add_co_ci_u32_e64 v11, s8, 0, v11, s8
	v_add_nc_u32_e32 v0, v0, v5
	s_or_b32 s16, vcc_lo, s16
	s_delay_alu instid0(SALU_CYCLE_1)
	s_and_not1_b32 exec_lo, exec_lo, s16
	s_cbranch_execnz .LBB4_32
; %bb.236:
	s_or_b32 exec_lo, exec_lo, s16
.LBB4_237:
	s_delay_alu instid0(SALU_CYCLE_1)
	s_or_b32 exec_lo, exec_lo, s12
	s_and_saveexec_b32 s1, s11
	s_cbranch_execz .LBB4_239
; %bb.238:
	s_waitcnt lgkmcnt(0)
	flat_store_b64 v[26:27], v[48:49] offset:104
.LBB4_239:
	s_or_b32 exec_lo, exec_lo, s1
	s_and_saveexec_b32 s1, s0
	s_cbranch_execz .LBB4_241
; %bb.240:
	s_waitcnt lgkmcnt(0)
	flat_store_b64 v[34:35], v[16:17] offset:104
.LBB4_241:
	s_or_b32 exec_lo, exec_lo, s1
	s_delay_alu instid0(SALU_CYCLE_1)
	s_mov_b32 s0, exec_lo
	v_cmpx_ne_u32_e32 32, v1
	s_cbranch_execz .LBB4_320
; %bb.242:
	s_mov_b32 s1, exec_lo
	v_cmpx_ne_u32_e64 v30, v1
	s_xor_b32 s1, exec_lo, s1
	s_cbranch_execz .LBB4_318
; %bb.243:
	v_and_b32_e32 v0, 31, v31
	s_mov_b32 s2, exec_lo
	s_delay_alu instid0(VALU_DEP_1)
	v_cmpx_eq_u32_e32 0, v0
	s_cbranch_execz .LBB4_317
; %bb.244:
	s_mov_b32 s4, exec_lo
	s_mov_b32 s3, exec_lo
	v_mbcnt_lo_u32_b32 v0, s4, 0
	s_waitcnt vmcnt(0) lgkmcnt(0)
	s_waitcnt_vscnt null, 0x0
	buffer_gl1_inv
	buffer_gl0_inv
	v_cmpx_eq_u32_e32 0, v0
	s_cbranch_execz .LBB4_246
; %bb.245:
	s_bcnt1_i32_b32 s4, s4
	s_delay_alu instid0(SALU_CYCLE_1)
	v_dual_mov_b32 v5, 0 :: v_dual_mov_b32 v4, s4
	ds_add_u64 v0, v[4:5]
	s_cbranch_execnz .LBB4_278
.LBB4_246:
	s_or_b32 exec_lo, exec_lo, s3
	s_cbranch_execnz .LBB4_263
; %bb.247:
	v_ashrrev_i32_e32 v0, 31, v1
	s_mov_b32 s3, exec_lo
	s_delay_alu instid0(VALU_DEP_1) | instskip(NEXT) | instid1(VALU_DEP_1)
	v_lshrrev_b32_e32 v0, 27, v0
	v_add_nc_u32_e32 v0, v1, v0
	ds_load_b64 v[4:5], v0
	v_ashrrev_i32_e32 v0, 5, v0
	s_delay_alu instid0(VALU_DEP_1) | instskip(SKIP_1) | instid1(VALU_DEP_2)
	v_ashrrev_i32_e32 v1, 31, v0
	v_add_co_u32 v0, vcc_lo, v2, v0
	v_add_co_ci_u32_e32 v1, vcc_lo, v3, v1, vcc_lo
	s_waitcnt lgkmcnt(0)
	s_delay_alu instid0(VALU_DEP_1)
	v_cmpx_lt_u64_e64 v[4:5], v[0:1]
	s_cbranch_execz .LBB4_316
; %bb.248:
	s_mov_b32 s4, 0
	s_mov_b32 s7, 0
                                        ; implicit-def: $sgpr5
                                        ; implicit-def: $sgpr6
	s_branch .LBB4_268
.LBB4_249:
	s_trap 2
	s_sendmsg_rtn_b32 s0, sendmsg(MSG_RTN_GET_DOORBELL)
	s_mov_b32 ttmp2, m0
	s_waitcnt lgkmcnt(0)
	s_and_b32 s0, s0, 0x3ff
	s_delay_alu instid0(SALU_CYCLE_1) | instskip(NEXT) | instid1(SALU_CYCLE_1)
	s_bitset1_b32 s0, 10
	s_mov_b32 m0, s0
	s_sendmsg sendmsg(MSG_INTERRUPT)
	s_mov_b32 m0, ttmp2
.LBB4_250:                              ; =>This Inner Loop Header: Depth=1
	s_sethalt 5
	s_branch .LBB4_250
.LBB4_251:
	s_trap 2
	s_sendmsg_rtn_b32 s0, sendmsg(MSG_RTN_GET_DOORBELL)
	s_mov_b32 ttmp2, m0
	s_waitcnt lgkmcnt(0)
	s_and_b32 s0, s0, 0x3ff
	s_delay_alu instid0(SALU_CYCLE_1) | instskip(NEXT) | instid1(SALU_CYCLE_1)
	s_bitset1_b32 s0, 10
	s_mov_b32 m0, s0
	s_sendmsg sendmsg(MSG_INTERRUPT)
	s_mov_b32 m0, ttmp2
.LBB4_252:                              ; =>This Inner Loop Header: Depth=1
	s_sethalt 5
	s_branch .LBB4_252
.LBB4_253:
	s_trap 2
	s_sendmsg_rtn_b32 s0, sendmsg(MSG_RTN_GET_DOORBELL)
	s_mov_b32 ttmp2, m0
	s_waitcnt lgkmcnt(0)
	s_and_b32 s0, s0, 0x3ff
	s_delay_alu instid0(SALU_CYCLE_1) | instskip(NEXT) | instid1(SALU_CYCLE_1)
	s_bitset1_b32 s0, 10
	s_mov_b32 m0, s0
	s_sendmsg sendmsg(MSG_INTERRUPT)
	s_mov_b32 m0, ttmp2
.LBB4_254:                              ; =>This Inner Loop Header: Depth=1
	s_sethalt 5
	s_branch .LBB4_254
.LBB4_255:
	s_trap 2
	s_sendmsg_rtn_b32 s0, sendmsg(MSG_RTN_GET_DOORBELL)
	s_mov_b32 ttmp2, m0
	s_waitcnt lgkmcnt(0)
	s_and_b32 s0, s0, 0x3ff
	s_delay_alu instid0(SALU_CYCLE_1) | instskip(NEXT) | instid1(SALU_CYCLE_1)
	s_bitset1_b32 s0, 10
	s_mov_b32 m0, s0
	s_sendmsg sendmsg(MSG_INTERRUPT)
	s_mov_b32 m0, ttmp2
.LBB4_256:                              ; =>This Inner Loop Header: Depth=1
	s_sethalt 5
	s_branch .LBB4_256
.LBB4_257:
	s_trap 2
	s_sendmsg_rtn_b32 s0, sendmsg(MSG_RTN_GET_DOORBELL)
	s_mov_b32 ttmp2, m0
	s_waitcnt lgkmcnt(0)
	s_and_b32 s0, s0, 0x3ff
	s_delay_alu instid0(SALU_CYCLE_1) | instskip(NEXT) | instid1(SALU_CYCLE_1)
	s_bitset1_b32 s0, 10
	s_mov_b32 m0, s0
	s_sendmsg sendmsg(MSG_INTERRUPT)
	s_mov_b32 m0, ttmp2
.LBB4_258:                              ; =>This Inner Loop Header: Depth=1
	s_sethalt 5
	s_branch .LBB4_258
.LBB4_259:
	s_trap 2
	s_sendmsg_rtn_b32 s0, sendmsg(MSG_RTN_GET_DOORBELL)
	s_mov_b32 ttmp2, m0
	s_waitcnt lgkmcnt(0)
	s_and_b32 s0, s0, 0x3ff
	s_delay_alu instid0(SALU_CYCLE_1) | instskip(NEXT) | instid1(SALU_CYCLE_1)
	s_bitset1_b32 s0, 10
	s_mov_b32 m0, s0
	s_sendmsg sendmsg(MSG_INTERRUPT)
	s_mov_b32 m0, ttmp2
.LBB4_260:                              ; =>This Inner Loop Header: Depth=1
	s_sethalt 5
	s_branch .LBB4_260
.LBB4_261:
	s_trap 2
	s_sendmsg_rtn_b32 s0, sendmsg(MSG_RTN_GET_DOORBELL)
	s_mov_b32 ttmp2, m0
	s_waitcnt lgkmcnt(0)
	s_and_b32 s0, s0, 0x3ff
	s_delay_alu instid0(SALU_CYCLE_1) | instskip(NEXT) | instid1(SALU_CYCLE_1)
	s_bitset1_b32 s0, 10
	s_mov_b32 m0, s0
	s_sendmsg sendmsg(MSG_INTERRUPT)
	s_mov_b32 m0, ttmp2
.LBB4_262:                              ; =>This Inner Loop Header: Depth=1
	s_sethalt 5
	s_branch .LBB4_262
.LBB4_263:
	s_trap 2
	s_sendmsg_rtn_b32 s0, sendmsg(MSG_RTN_GET_DOORBELL)
	s_mov_b32 ttmp2, m0
	s_waitcnt lgkmcnt(0)
	s_and_b32 s0, s0, 0x3ff
	s_delay_alu instid0(SALU_CYCLE_1) | instskip(NEXT) | instid1(SALU_CYCLE_1)
	s_bitset1_b32 s0, 10
	s_mov_b32 m0, s0
	s_sendmsg sendmsg(MSG_INTERRUPT)
	s_mov_b32 m0, ttmp2
.LBB4_264:                              ; =>This Inner Loop Header: Depth=1
	s_sethalt 5
	s_branch .LBB4_264
.LBB4_265:
	s_trap 2
	s_sendmsg_rtn_b32 s0, sendmsg(MSG_RTN_GET_DOORBELL)
	s_mov_b32 ttmp2, m0
	s_waitcnt lgkmcnt(0)
	s_and_b32 s0, s0, 0x3ff
	s_delay_alu instid0(SALU_CYCLE_1) | instskip(NEXT) | instid1(SALU_CYCLE_1)
	s_bitset1_b32 s0, 10
	s_mov_b32 m0, s0
	s_sendmsg sendmsg(MSG_INTERRUPT)
	s_mov_b32 m0, ttmp2
.LBB4_266:                              ; =>This Inner Loop Header: Depth=1
	s_sethalt 5
	s_branch .LBB4_266
.LBB4_267:                              ;   in Loop: Header=BB4_268 Depth=1
	s_or_b32 exec_lo, exec_lo, s10
	s_delay_alu instid0(SALU_CYCLE_1) | instskip(NEXT) | instid1(SALU_CYCLE_1)
	s_and_b32 s8, exec_lo, s9
	s_or_b32 s4, s8, s4
	s_and_not1_b32 s5, s5, exec_lo
	s_and_b32 s8, s6, exec_lo
	s_delay_alu instid0(SALU_CYCLE_1)
	s_or_b32 s5, s5, s8
	s_and_not1_b32 exec_lo, exec_lo, s4
	s_cbranch_execz .LBB4_314
.LBB4_268:                              ; =>This Inner Loop Header: Depth=1
	s_add_i32 s7, s7, 1
                                        ; implicit-def: $sgpr9
	s_delay_alu instid0(SALU_CYCLE_1) | instskip(SKIP_1) | instid1(SALU_CYCLE_1)
	s_cmpk_lg_i32 s7, 0x2710
	s_cselect_b32 s8, -1, 0
	s_and_b32 vcc_lo, exec_lo, s8
	s_cbranch_vccz .LBB4_272
.LBB4_269:                              ;   in Loop: Header=BB4_268 Depth=1
	s_and_not1_b32 s6, s6, exec_lo
	s_and_b32 s10, s9, exec_lo
	s_mov_b32 s9, -1
	s_or_b32 s6, s6, s10
	s_and_saveexec_b32 s10, s8
	s_cbranch_execz .LBB4_267
; %bb.270:                              ;   in Loop: Header=BB4_268 Depth=1
	s_sleep 1
	s_cbranch_execnz .LBB4_292
; %bb.271:                              ;   in Loop: Header=BB4_268 Depth=1
	ds_load_b64 v[2:3], v0
	s_and_not1_b32 s6, s6, exec_lo
	s_waitcnt lgkmcnt(0)
	v_cmp_ge_u64_e32 vcc_lo, v[2:3], v[0:1]
	s_or_not1_b32 s9, vcc_lo, exec_lo
	s_branch .LBB4_267
.LBB4_272:                              ;   in Loop: Header=BB4_268 Depth=1
	s_cbranch_execnz .LBB4_298
; %bb.273:                              ;   in Loop: Header=BB4_268 Depth=1
	ds_load_b64 v[2:3], v0
	s_and_not1_b32 s8, s8, exec_lo
	s_mov_b32 s7, 0
	s_mov_b32 s9, -1
	s_waitcnt lgkmcnt(0)
	flat_load_b32 v2, v[2:3] glc
	s_waitcnt vmcnt(0) lgkmcnt(0)
	buffer_gl1_inv
	buffer_gl0_inv
	v_cmp_eq_u32_e32 vcc_lo, 0, v2
	s_and_b32 s10, vcc_lo, exec_lo
	s_delay_alu instid0(SALU_CYCLE_1)
	s_or_b32 s8, s8, s10
	s_branch .LBB4_269
.LBB4_274:
	s_trap 2
	s_sendmsg_rtn_b32 s0, sendmsg(MSG_RTN_GET_DOORBELL)
	s_mov_b32 ttmp2, m0
	s_waitcnt lgkmcnt(0)
	s_and_b32 s0, s0, 0x3ff
	s_delay_alu instid0(SALU_CYCLE_1) | instskip(NEXT) | instid1(SALU_CYCLE_1)
	s_bitset1_b32 s0, 10
	s_mov_b32 m0, s0
	s_sendmsg sendmsg(MSG_INTERRUPT)
	s_mov_b32 m0, ttmp2
.LBB4_275:                              ; =>This Inner Loop Header: Depth=1
	s_sethalt 5
	s_branch .LBB4_275
.LBB4_276:
	s_trap 2
	s_sendmsg_rtn_b32 s0, sendmsg(MSG_RTN_GET_DOORBELL)
	s_mov_b32 ttmp2, m0
	s_waitcnt lgkmcnt(0)
	s_and_b32 s0, s0, 0x3ff
	s_delay_alu instid0(SALU_CYCLE_1) | instskip(NEXT) | instid1(SALU_CYCLE_1)
	s_bitset1_b32 s0, 10
	s_mov_b32 m0, s0
	s_sendmsg sendmsg(MSG_INTERRUPT)
	s_mov_b32 m0, ttmp2
.LBB4_277:                              ; =>This Inner Loop Header: Depth=1
	s_sethalt 5
	s_branch .LBB4_277
.LBB4_278:
	s_trap 2
	s_sendmsg_rtn_b32 s0, sendmsg(MSG_RTN_GET_DOORBELL)
	s_mov_b32 ttmp2, m0
	s_waitcnt lgkmcnt(0)
	s_and_b32 s0, s0, 0x3ff
	s_delay_alu instid0(SALU_CYCLE_1) | instskip(NEXT) | instid1(SALU_CYCLE_1)
	s_bitset1_b32 s0, 10
	s_mov_b32 m0, s0
	s_sendmsg sendmsg(MSG_INTERRUPT)
	s_mov_b32 m0, ttmp2
.LBB4_279:                              ; =>This Inner Loop Header: Depth=1
	s_sethalt 5
	s_branch .LBB4_279
.LBB4_280:
	s_trap 2
	s_sendmsg_rtn_b32 s0, sendmsg(MSG_RTN_GET_DOORBELL)
	s_mov_b32 ttmp2, m0
	s_waitcnt lgkmcnt(0)
	s_and_b32 s0, s0, 0x3ff
	s_delay_alu instid0(SALU_CYCLE_1) | instskip(NEXT) | instid1(SALU_CYCLE_1)
	s_bitset1_b32 s0, 10
	s_mov_b32 m0, s0
	s_sendmsg sendmsg(MSG_INTERRUPT)
	s_mov_b32 m0, ttmp2
.LBB4_281:                              ; =>This Inner Loop Header: Depth=1
	s_sethalt 5
	s_branch .LBB4_281
.LBB4_282:
	s_trap 2
	s_sendmsg_rtn_b32 s0, sendmsg(MSG_RTN_GET_DOORBELL)
	s_mov_b32 ttmp2, m0
	s_waitcnt lgkmcnt(0)
	s_and_b32 s0, s0, 0x3ff
	s_delay_alu instid0(SALU_CYCLE_1) | instskip(NEXT) | instid1(SALU_CYCLE_1)
	s_bitset1_b32 s0, 10
	s_mov_b32 m0, s0
	s_sendmsg sendmsg(MSG_INTERRUPT)
	s_mov_b32 m0, ttmp2
.LBB4_283:                              ; =>This Inner Loop Header: Depth=1
	s_sethalt 5
	s_branch .LBB4_283
.LBB4_284:
	s_trap 2
	s_sendmsg_rtn_b32 s0, sendmsg(MSG_RTN_GET_DOORBELL)
	s_mov_b32 ttmp2, m0
	s_waitcnt lgkmcnt(0)
	s_and_b32 s0, s0, 0x3ff
	s_delay_alu instid0(SALU_CYCLE_1) | instskip(NEXT) | instid1(SALU_CYCLE_1)
	s_bitset1_b32 s0, 10
	s_mov_b32 m0, s0
	s_sendmsg sendmsg(MSG_INTERRUPT)
	s_mov_b32 m0, ttmp2
.LBB4_285:                              ; =>This Inner Loop Header: Depth=1
	s_sethalt 5
	s_branch .LBB4_285
.LBB4_286:
	s_trap 2
	s_sendmsg_rtn_b32 s0, sendmsg(MSG_RTN_GET_DOORBELL)
	s_mov_b32 ttmp2, m0
	s_waitcnt lgkmcnt(0)
	s_and_b32 s0, s0, 0x3ff
	s_delay_alu instid0(SALU_CYCLE_1) | instskip(NEXT) | instid1(SALU_CYCLE_1)
	s_bitset1_b32 s0, 10
	s_mov_b32 m0, s0
	s_sendmsg sendmsg(MSG_INTERRUPT)
	s_mov_b32 m0, ttmp2
.LBB4_287:                              ; =>This Inner Loop Header: Depth=1
	s_sethalt 5
	s_branch .LBB4_287
.LBB4_288:
	s_trap 2
	s_sendmsg_rtn_b32 s0, sendmsg(MSG_RTN_GET_DOORBELL)
	s_mov_b32 ttmp2, m0
	s_waitcnt lgkmcnt(0)
	s_and_b32 s0, s0, 0x3ff
	s_delay_alu instid0(SALU_CYCLE_1) | instskip(NEXT) | instid1(SALU_CYCLE_1)
	s_bitset1_b32 s0, 10
	s_mov_b32 m0, s0
	s_sendmsg sendmsg(MSG_INTERRUPT)
	s_mov_b32 m0, ttmp2
.LBB4_289:                              ; =>This Inner Loop Header: Depth=1
	s_sethalt 5
	s_branch .LBB4_289
.LBB4_290:
	s_trap 2
	s_sendmsg_rtn_b32 s0, sendmsg(MSG_RTN_GET_DOORBELL)
	s_mov_b32 ttmp2, m0
	s_waitcnt lgkmcnt(0)
	s_and_b32 s0, s0, 0x3ff
	s_delay_alu instid0(SALU_CYCLE_1) | instskip(NEXT) | instid1(SALU_CYCLE_1)
	s_bitset1_b32 s0, 10
	s_mov_b32 m0, s0
	s_sendmsg sendmsg(MSG_INTERRUPT)
	s_mov_b32 m0, ttmp2
.LBB4_291:                              ; =>This Inner Loop Header: Depth=1
	s_sethalt 5
	s_branch .LBB4_291
.LBB4_292:
	s_trap 2
	s_sendmsg_rtn_b32 s0, sendmsg(MSG_RTN_GET_DOORBELL)
	s_mov_b32 ttmp2, m0
	s_waitcnt lgkmcnt(0)
	s_and_b32 s0, s0, 0x3ff
	s_delay_alu instid0(SALU_CYCLE_1) | instskip(NEXT) | instid1(SALU_CYCLE_1)
	s_bitset1_b32 s0, 10
	s_mov_b32 m0, s0
	s_sendmsg sendmsg(MSG_INTERRUPT)
	s_mov_b32 m0, ttmp2
.LBB4_293:                              ; =>This Inner Loop Header: Depth=1
	s_sethalt 5
	s_branch .LBB4_293
.LBB4_294:
	s_trap 2
	s_sendmsg_rtn_b32 s0, sendmsg(MSG_RTN_GET_DOORBELL)
	s_mov_b32 ttmp2, m0
	s_waitcnt lgkmcnt(0)
	s_and_b32 s0, s0, 0x3ff
	s_delay_alu instid0(SALU_CYCLE_1) | instskip(NEXT) | instid1(SALU_CYCLE_1)
	s_bitset1_b32 s0, 10
	s_mov_b32 m0, s0
	s_sendmsg sendmsg(MSG_INTERRUPT)
	s_mov_b32 m0, ttmp2
.LBB4_295:                              ; =>This Inner Loop Header: Depth=1
	s_sethalt 5
	s_branch .LBB4_295
.LBB4_296:
	s_trap 2
	s_sendmsg_rtn_b32 s0, sendmsg(MSG_RTN_GET_DOORBELL)
	s_mov_b32 ttmp2, m0
	s_waitcnt lgkmcnt(0)
	s_and_b32 s0, s0, 0x3ff
	s_delay_alu instid0(SALU_CYCLE_1) | instskip(NEXT) | instid1(SALU_CYCLE_1)
	s_bitset1_b32 s0, 10
	s_mov_b32 m0, s0
	s_sendmsg sendmsg(MSG_INTERRUPT)
	s_mov_b32 m0, ttmp2
.LBB4_297:                              ; =>This Inner Loop Header: Depth=1
	s_sethalt 5
	s_branch .LBB4_297
.LBB4_298:
	s_trap 2
	s_sendmsg_rtn_b32 s0, sendmsg(MSG_RTN_GET_DOORBELL)
	s_mov_b32 ttmp2, m0
	s_waitcnt lgkmcnt(0)
	s_and_b32 s0, s0, 0x3ff
	s_delay_alu instid0(SALU_CYCLE_1) | instskip(NEXT) | instid1(SALU_CYCLE_1)
	s_bitset1_b32 s0, 10
	s_mov_b32 m0, s0
	s_sendmsg sendmsg(MSG_INTERRUPT)
	s_mov_b32 m0, ttmp2
.LBB4_299:                              ; =>This Inner Loop Header: Depth=1
	s_sethalt 5
	s_branch .LBB4_299
.LBB4_300:
	s_trap 2
	s_sendmsg_rtn_b32 s0, sendmsg(MSG_RTN_GET_DOORBELL)
	s_mov_b32 ttmp2, m0
	s_waitcnt lgkmcnt(0)
	s_and_b32 s0, s0, 0x3ff
	s_delay_alu instid0(SALU_CYCLE_1) | instskip(NEXT) | instid1(SALU_CYCLE_1)
	s_bitset1_b32 s0, 10
	s_mov_b32 m0, s0
	s_sendmsg sendmsg(MSG_INTERRUPT)
	s_mov_b32 m0, ttmp2
.LBB4_301:                              ; =>This Inner Loop Header: Depth=1
	s_sethalt 5
	s_branch .LBB4_301
.LBB4_302:
	s_trap 2
	s_sendmsg_rtn_b32 s0, sendmsg(MSG_RTN_GET_DOORBELL)
	s_mov_b32 ttmp2, m0
	s_waitcnt lgkmcnt(0)
	s_and_b32 s0, s0, 0x3ff
	s_delay_alu instid0(SALU_CYCLE_1) | instskip(NEXT) | instid1(SALU_CYCLE_1)
	s_bitset1_b32 s0, 10
	s_mov_b32 m0, s0
	s_sendmsg sendmsg(MSG_INTERRUPT)
	s_mov_b32 m0, ttmp2
.LBB4_303:                              ; =>This Inner Loop Header: Depth=1
	s_sethalt 5
	s_branch .LBB4_303
.LBB4_304:
	s_trap 2
	s_sendmsg_rtn_b32 s0, sendmsg(MSG_RTN_GET_DOORBELL)
	s_mov_b32 ttmp2, m0
	s_waitcnt lgkmcnt(0)
	s_and_b32 s0, s0, 0x3ff
	s_delay_alu instid0(SALU_CYCLE_1) | instskip(NEXT) | instid1(SALU_CYCLE_1)
	s_bitset1_b32 s0, 10
	s_mov_b32 m0, s0
	s_sendmsg sendmsg(MSG_INTERRUPT)
	s_mov_b32 m0, ttmp2
.LBB4_305:                              ; =>This Inner Loop Header: Depth=1
	s_sethalt 5
	s_branch .LBB4_305
.LBB4_306:
	s_trap 2
	s_sendmsg_rtn_b32 s0, sendmsg(MSG_RTN_GET_DOORBELL)
	s_mov_b32 ttmp2, m0
	s_waitcnt lgkmcnt(0)
	s_and_b32 s0, s0, 0x3ff
	s_delay_alu instid0(SALU_CYCLE_1) | instskip(NEXT) | instid1(SALU_CYCLE_1)
	s_bitset1_b32 s0, 10
	s_mov_b32 m0, s0
	s_sendmsg sendmsg(MSG_INTERRUPT)
	s_mov_b32 m0, ttmp2
.LBB4_307:                              ; =>This Inner Loop Header: Depth=1
	s_sethalt 5
	s_branch .LBB4_307
.LBB4_308:
	s_trap 2
	s_sendmsg_rtn_b32 s0, sendmsg(MSG_RTN_GET_DOORBELL)
	s_mov_b32 ttmp2, m0
	s_waitcnt lgkmcnt(0)
	s_and_b32 s0, s0, 0x3ff
	s_delay_alu instid0(SALU_CYCLE_1) | instskip(NEXT) | instid1(SALU_CYCLE_1)
	s_bitset1_b32 s0, 10
	s_mov_b32 m0, s0
	s_sendmsg sendmsg(MSG_INTERRUPT)
	s_mov_b32 m0, ttmp2
.LBB4_309:                              ; =>This Inner Loop Header: Depth=1
	s_sethalt 5
	s_branch .LBB4_309
.LBB4_310:
	s_trap 2
	s_sendmsg_rtn_b32 s0, sendmsg(MSG_RTN_GET_DOORBELL)
	s_mov_b32 ttmp2, m0
	s_waitcnt lgkmcnt(0)
	s_and_b32 s0, s0, 0x3ff
	s_delay_alu instid0(SALU_CYCLE_1) | instskip(NEXT) | instid1(SALU_CYCLE_1)
	s_bitset1_b32 s0, 10
	s_mov_b32 m0, s0
	s_sendmsg sendmsg(MSG_INTERRUPT)
	s_mov_b32 m0, ttmp2
.LBB4_311:                              ; =>This Inner Loop Header: Depth=1
	s_sethalt 5
	s_branch .LBB4_311
.LBB4_312:
	s_trap 2
	s_sendmsg_rtn_b32 s0, sendmsg(MSG_RTN_GET_DOORBELL)
	s_mov_b32 ttmp2, m0
	s_waitcnt lgkmcnt(0)
	s_and_b32 s0, s0, 0x3ff
	s_delay_alu instid0(SALU_CYCLE_1) | instskip(NEXT) | instid1(SALU_CYCLE_1)
	s_bitset1_b32 s0, 10
	s_mov_b32 m0, s0
	s_sendmsg sendmsg(MSG_INTERRUPT)
	s_mov_b32 m0, ttmp2
.LBB4_313:                              ; =>This Inner Loop Header: Depth=1
	s_sethalt 5
	s_branch .LBB4_313
.LBB4_314:
	s_or_b32 exec_lo, exec_lo, s4
	s_and_saveexec_b32 s4, s5
	s_delay_alu instid0(SALU_CYCLE_1)
	s_xor_b32 s4, exec_lo, s4
	s_cbranch_execz .LBB4_316
; %bb.315:
	v_mov_b32_e32 v0, 1
	ds_store_b32 v0, v0
	s_cbranch_execnz .LBB4_323
.LBB4_316:
	s_or_b32 exec_lo, exec_lo, s3
	;;#ASMSTART
	s_wakeup
	;;#ASMEND
.LBB4_317:
	s_or_b32 exec_lo, exec_lo, s2
.LBB4_318:
	s_and_not1_saveexec_b32 s1, s1
	s_cbranch_execz .LBB4_320
; %bb.319:
	s_waitcnt vmcnt(0) lgkmcnt(0)
	s_waitcnt_vscnt null, 0x0
	buffer_gl1_inv
	buffer_gl0_inv
	s_barrier
.LBB4_320:
	s_or_b32 exec_lo, exec_lo, s0
	s_waitcnt vmcnt(0) lgkmcnt(0)
	s_setpc_b64 s[30:31]
.LBB4_321:
	s_trap 2
	s_sendmsg_rtn_b32 s0, sendmsg(MSG_RTN_GET_DOORBELL)
	s_mov_b32 ttmp2, m0
	s_waitcnt lgkmcnt(0)
	s_and_b32 s0, s0, 0x3ff
	s_delay_alu instid0(SALU_CYCLE_1) | instskip(NEXT) | instid1(SALU_CYCLE_1)
	s_bitset1_b32 s0, 10
	s_mov_b32 m0, s0
	s_sendmsg sendmsg(MSG_INTERRUPT)
	s_mov_b32 m0, ttmp2
.LBB4_322:                              ; =>This Inner Loop Header: Depth=1
	s_sethalt 5
	s_branch .LBB4_322
.LBB4_323:
	s_trap 2
	s_sendmsg_rtn_b32 s0, sendmsg(MSG_RTN_GET_DOORBELL)
	s_mov_b32 ttmp2, m0
	s_waitcnt lgkmcnt(0)
	s_and_b32 s0, s0, 0x3ff
	s_delay_alu instid0(SALU_CYCLE_1) | instskip(NEXT) | instid1(SALU_CYCLE_1)
	s_bitset1_b32 s0, 10
	s_mov_b32 m0, s0
	s_sendmsg sendmsg(MSG_INTERRUPT)
	s_mov_b32 m0, ttmp2
.LBB4_324:                              ; =>This Inner Loop Header: Depth=1
	s_sethalt 5
	s_branch .LBB4_324
.LBB4_325:
	s_trap 2
	s_sendmsg_rtn_b32 s0, sendmsg(MSG_RTN_GET_DOORBELL)
	s_mov_b32 ttmp2, m0
	s_waitcnt lgkmcnt(0)
	s_and_b32 s0, s0, 0x3ff
	s_delay_alu instid0(SALU_CYCLE_1) | instskip(NEXT) | instid1(SALU_CYCLE_1)
	s_bitset1_b32 s0, 10
	s_mov_b32 m0, s0
	s_sendmsg sendmsg(MSG_INTERRUPT)
	s_mov_b32 m0, ttmp2
.LBB4_326:                              ; =>This Inner Loop Header: Depth=1
	s_sethalt 5
	s_branch .LBB4_326
.LBB4_327:
	s_trap 2
	s_sendmsg_rtn_b32 s0, sendmsg(MSG_RTN_GET_DOORBELL)
	s_mov_b32 ttmp2, m0
	s_waitcnt lgkmcnt(0)
	s_and_b32 s0, s0, 0x3ff
	s_delay_alu instid0(SALU_CYCLE_1) | instskip(NEXT) | instid1(SALU_CYCLE_1)
	s_bitset1_b32 s0, 10
	s_mov_b32 m0, s0
	s_sendmsg sendmsg(MSG_INTERRUPT)
	s_mov_b32 m0, ttmp2
.LBB4_328:                              ; =>This Inner Loop Header: Depth=1
	s_sethalt 5
	s_branch .LBB4_328
.LBB4_329:
	s_trap 2
	s_sendmsg_rtn_b32 s0, sendmsg(MSG_RTN_GET_DOORBELL)
	s_mov_b32 ttmp2, m0
	s_waitcnt lgkmcnt(0)
	s_and_b32 s0, s0, 0x3ff
	s_delay_alu instid0(SALU_CYCLE_1) | instskip(NEXT) | instid1(SALU_CYCLE_1)
	s_bitset1_b32 s0, 10
	s_mov_b32 m0, s0
	s_sendmsg sendmsg(MSG_INTERRUPT)
	s_mov_b32 m0, ttmp2
.LBB4_330:                              ; =>This Inner Loop Header: Depth=1
	s_sethalt 5
	s_branch .LBB4_330
.Lfunc_end4:
	.size	_ZN12_GLOBAL__N_17runRingI6__half8FuncProdIS1_E7ProtoLLLi0ELi4ELi0EEEviiP15ncclDevWorkColl, .Lfunc_end4-_ZN12_GLOBAL__N_17runRingI6__half8FuncProdIS1_E7ProtoLLLi0ELi4ELi0EEEviiP15ncclDevWorkColl
                                        ; -- End function
	.section	.AMDGPU.csdata,"",@progbits
; Function info:
; codeLenInByte = 9992
; NumSgprs: 34
; NumVgprs: 178
; ScratchSize: 0
; MemoryBound: 0
	.text
	.p2align	2                               ; -- Begin function _Z48ncclDevFunc_ReduceScatter_RING_LL_Prod_f16_0_0_4v
	.type	_Z48ncclDevFunc_ReduceScatter_RING_LL_Prod_f16_0_0_4v,@function
_Z48ncclDevFunc_ReduceScatter_RING_LL_Prod_f16_0_0_4v: ; @_Z48ncclDevFunc_ReduceScatter_RING_LL_Prod_f16_0_0_4v
; %bb.0:
	s_waitcnt vmcnt(0) expcnt(0) lgkmcnt(0)
	s_mov_b32 s0, s33
	s_mov_b32 s33, s32
	s_or_saveexec_b32 s1, -1
	scratch_store_b32 off, v40, s33         ; 4-byte Folded Spill
	s_mov_b32 exec_lo, s1
	v_writelane_b32 v40, s0, 6
	s_add_i32 s32, s32, 16
	v_writelane_b32 v40, s34, 0
	v_writelane_b32 v40, s35, 1
	;; [unrolled: 1-line block ×6, first 2 shown]
	s_cbranch_execnz .LBB5_13
; %bb.1:
	ds_load_b32 v0, v0
	s_waitcnt lgkmcnt(0)
	v_cmp_gt_i32_e32 vcc_lo, 1, v0
	s_cbranch_vccnz .LBB5_12
; %bb.2:
	v_and_b32_e32 v178, 0x3ff, v31
	s_mov_b32 s36, 0
	s_mov_b64 s[34:35], src_shared_base
.LBB5_3:                                ; =>This Inner Loop Header: Depth=1
	s_cbranch_execnz .LBB5_15
; %bb.4:                                ;   in Loop: Header=BB5_3 Depth=1
	ds_load_b32 v0, v0
	s_cmp_eq_u32 s36, 0
	s_cbranch_scc1 .LBB5_8
; %bb.5:                                ;   in Loop: Header=BB5_3 Depth=1
	s_cbranch_execnz .LBB5_19
; %bb.6:                                ;   in Loop: Header=BB5_3 Depth=1
	s_waitcnt lgkmcnt(0)
	ds_load_b32 v1, v0
	s_waitcnt lgkmcnt(0)
	v_xor_b32_e32 v1, v1, v0
	s_delay_alu instid0(VALU_DEP_1) | instskip(NEXT) | instid1(VALU_DEP_1)
	v_and_b32_e32 v1, 0xff0000, v1
	v_cmp_eq_u32_e32 vcc_lo, 0, v1
	s_cbranch_vccnz .LBB5_8
; %bb.7:                                ;   in Loop: Header=BB5_3 Depth=1
	s_waitcnt_vscnt null, 0x0
	s_barrier
	buffer_gl0_inv
	ds_load_b32 v0, v0
.LBB5_8:                                ;   in Loop: Header=BB5_3 Depth=1
	s_waitcnt lgkmcnt(0)
	v_lshrrev_b32_e32 v0, 11, v0
	s_mov_b32 s37, exec_lo
	s_delay_alu instid0(VALU_DEP_1) | instskip(NEXT) | instid1(VALU_DEP_1)
	v_and_b32_e32 v1, 0x1fe0, v0
	v_cmpx_lt_u32_e64 v178, v1
	s_cbranch_execz .LBB5_10
; %bb.9:                                ;   in Loop: Header=BB5_3 Depth=1
	v_dual_mov_b32 v0, v178 :: v_dual_mov_b32 v3, s35
	s_getpc_b64 s[0:1]
	s_add_u32 s0, s0, _ZN12_GLOBAL__N_17runRingI6__half8FuncProdIS1_E7ProtoLLLi0ELi4ELi0EEEviiP15ncclDevWorkColl@rel32@lo+4
	s_addc_u32 s1, s1, _ZN12_GLOBAL__N_17runRingI6__half8FuncProdIS1_E7ProtoLLLi0ELi4ELi0EEEviiP15ncclDevWorkColl@rel32@hi+12
	s_mov_b64 s[28:29], s[8:9]
	s_mov_b32 s34, s12
	s_swappc_b64 s[30:31], s[0:1]
	s_mov_b32 s12, s34
	s_mov_b64 s[8:9], s[28:29]
.LBB5_10:                               ;   in Loop: Header=BB5_3 Depth=1
	s_or_b32 exec_lo, exec_lo, s37
	s_cbranch_execnz .LBB5_17
; %bb.11:                               ;   in Loop: Header=BB5_3 Depth=1
	ds_load_b32 v0, v0
	s_add_i32 s36, s36, 1
	s_waitcnt lgkmcnt(0)
	v_cmp_lt_i32_e32 vcc_lo, s36, v0
	s_cbranch_vccnz .LBB5_3
.LBB5_12:
	v_readlane_b32 s30, v40, 4
	v_readlane_b32 s31, v40, 5
	;; [unrolled: 1-line block ×7, first 2 shown]
	s_or_saveexec_b32 s1, -1
	scratch_load_b32 v40, off, s33          ; 4-byte Folded Reload
	s_mov_b32 exec_lo, s1
	s_add_i32 s32, s32, -16
	s_mov_b32 s33, s0
	s_waitcnt vmcnt(0)
	s_setpc_b64 s[30:31]
.LBB5_13:
	s_trap 2
	s_sendmsg_rtn_b32 s0, sendmsg(MSG_RTN_GET_DOORBELL)
	s_mov_b32 ttmp2, m0
	s_waitcnt lgkmcnt(0)
	s_and_b32 s0, s0, 0x3ff
	s_delay_alu instid0(SALU_CYCLE_1) | instskip(NEXT) | instid1(SALU_CYCLE_1)
	s_bitset1_b32 s0, 10
	s_mov_b32 m0, s0
	s_sendmsg sendmsg(MSG_INTERRUPT)
	s_mov_b32 m0, ttmp2
.LBB5_14:                               ; =>This Inner Loop Header: Depth=1
	s_sethalt 5
	s_branch .LBB5_14
.LBB5_15:
	s_trap 2
	s_sendmsg_rtn_b32 s0, sendmsg(MSG_RTN_GET_DOORBELL)
	s_mov_b32 ttmp2, m0
	s_waitcnt lgkmcnt(0)
	s_and_b32 s0, s0, 0x3ff
	s_delay_alu instid0(SALU_CYCLE_1) | instskip(NEXT) | instid1(SALU_CYCLE_1)
	s_bitset1_b32 s0, 10
	s_mov_b32 m0, s0
	s_sendmsg sendmsg(MSG_INTERRUPT)
	s_mov_b32 m0, ttmp2
.LBB5_16:                               ; =>This Inner Loop Header: Depth=1
	s_sethalt 5
	s_branch .LBB5_16
.LBB5_17:
	s_trap 2
	s_sendmsg_rtn_b32 s0, sendmsg(MSG_RTN_GET_DOORBELL)
	s_mov_b32 ttmp2, m0
	s_waitcnt lgkmcnt(0)
	s_and_b32 s0, s0, 0x3ff
	s_delay_alu instid0(SALU_CYCLE_1) | instskip(NEXT) | instid1(SALU_CYCLE_1)
	s_bitset1_b32 s0, 10
	s_mov_b32 m0, s0
	s_sendmsg sendmsg(MSG_INTERRUPT)
	s_mov_b32 m0, ttmp2
.LBB5_18:                               ; =>This Inner Loop Header: Depth=1
	s_sethalt 5
	s_branch .LBB5_18
.LBB5_19:
	s_trap 2
	s_sendmsg_rtn_b32 s0, sendmsg(MSG_RTN_GET_DOORBELL)
	s_mov_b32 ttmp2, m0
	s_waitcnt lgkmcnt(0)
	s_and_b32 s0, s0, 0x3ff
	s_delay_alu instid0(SALU_CYCLE_1) | instskip(NEXT) | instid1(SALU_CYCLE_1)
	s_bitset1_b32 s0, 10
	s_mov_b32 m0, s0
	s_sendmsg sendmsg(MSG_INTERRUPT)
	s_mov_b32 m0, ttmp2
.LBB5_20:                               ; =>This Inner Loop Header: Depth=1
	s_sethalt 5
	s_branch .LBB5_20
.Lfunc_end5:
	.size	_Z48ncclDevFunc_ReduceScatter_RING_LL_Prod_f16_0_0_4v, .Lfunc_end5-_Z48ncclDevFunc_ReduceScatter_RING_LL_Prod_f16_0_0_4v
                                        ; -- End function
	.section	.AMDGPU.csdata,"",@progbits
; Function info:
; codeLenInByte = 628
; NumSgprs: 40
; NumVgprs: 179
; ScratchSize: 16
; MemoryBound: 0
	.text
	.p2alignl 7, 3214868480
	.fill 96, 4, 3214868480
	.type	__hip_cuid_fc4a90cc770b1bc9,@object ; @__hip_cuid_fc4a90cc770b1bc9
	.section	.bss,"aw",@nobits
	.globl	__hip_cuid_fc4a90cc770b1bc9
__hip_cuid_fc4a90cc770b1bc9:
	.byte	0                               ; 0x0
	.size	__hip_cuid_fc4a90cc770b1bc9, 1

	.ident	"AMD clang version 19.0.0git (https://github.com/RadeonOpenCompute/llvm-project roc-6.4.0 25133 c7fe45cf4b819c5991fe208aaa96edf142730f1d)"
	.section	".note.GNU-stack","",@progbits
	.addrsig
	.addrsig_sym _Z48ncclDevFunc_ReduceScatter_RING_LL_Prod_f16_0_0_1v
	.addrsig_sym _Z48ncclDevFunc_ReduceScatter_RING_LL_Prod_f16_0_0_2v
	.addrsig_sym _Z48ncclDevFunc_ReduceScatter_RING_LL_Prod_f16_0_0_4v
	.addrsig_sym ncclShmem
	.addrsig_sym __hip_cuid_fc4a90cc770b1bc9
	.amdgpu_metadata
---
amdhsa.kernels:  []
amdhsa.target:   amdgcn-amd-amdhsa--gfx1100
amdhsa.version:
  - 1
  - 2
...

	.end_amdgpu_metadata
